;; amdgpu-corpus repo=ROCm/rocFFT kind=compiled arch=gfx1201 opt=O3
	.text
	.amdgcn_target "amdgcn-amd-amdhsa--gfx1201"
	.amdhsa_code_object_version 6
	.protected	fft_rtc_fwd_len3600_factors_10_10_6_6_wgs_120_tpt_120_halfLds_dp_ip_CI_unitstride_sbrr_dirReg ; -- Begin function fft_rtc_fwd_len3600_factors_10_10_6_6_wgs_120_tpt_120_halfLds_dp_ip_CI_unitstride_sbrr_dirReg
	.globl	fft_rtc_fwd_len3600_factors_10_10_6_6_wgs_120_tpt_120_halfLds_dp_ip_CI_unitstride_sbrr_dirReg
	.p2align	8
	.type	fft_rtc_fwd_len3600_factors_10_10_6_6_wgs_120_tpt_120_halfLds_dp_ip_CI_unitstride_sbrr_dirReg,@function
fft_rtc_fwd_len3600_factors_10_10_6_6_wgs_120_tpt_120_halfLds_dp_ip_CI_unitstride_sbrr_dirReg: ; @fft_rtc_fwd_len3600_factors_10_10_6_6_wgs_120_tpt_120_halfLds_dp_ip_CI_unitstride_sbrr_dirReg
; %bb.0:
	s_clause 0x2
	s_load_b128 s[4:7], s[0:1], 0x0
	s_load_b64 s[8:9], s[0:1], 0x50
	s_load_b64 s[10:11], s[0:1], 0x18
	v_mul_u32_u24_e32 v1, 0x223, v0
	v_mov_b32_e32 v3, 0
	s_delay_alu instid0(VALU_DEP_2) | instskip(NEXT) | instid1(VALU_DEP_1)
	v_lshrrev_b32_e32 v1, 16, v1
	v_add_nc_u32_e32 v5, ttmp9, v1
	v_mov_b32_e32 v1, 0
	v_mov_b32_e32 v2, 0
	;; [unrolled: 1-line block ×3, first 2 shown]
	s_wait_kmcnt 0x0
	v_cmp_lt_u64_e64 s2, s[6:7], 2
	s_delay_alu instid0(VALU_DEP_1)
	s_and_b32 vcc_lo, exec_lo, s2
	s_cbranch_vccnz .LBB0_8
; %bb.1:
	s_load_b64 s[2:3], s[0:1], 0x10
	v_mov_b32_e32 v1, 0
	v_mov_b32_e32 v2, 0
	s_add_nc_u64 s[12:13], s[10:11], 8
	s_mov_b64 s[14:15], 1
	s_wait_kmcnt 0x0
	s_add_nc_u64 s[16:17], s[2:3], 8
	s_mov_b32 s3, 0
.LBB0_2:                                ; =>This Inner Loop Header: Depth=1
	s_load_b64 s[18:19], s[16:17], 0x0
                                        ; implicit-def: $vgpr7_vgpr8
	s_mov_b32 s2, exec_lo
	s_wait_kmcnt 0x0
	v_or_b32_e32 v4, s19, v6
	s_delay_alu instid0(VALU_DEP_1)
	v_cmpx_ne_u64_e32 0, v[3:4]
	s_wait_alu 0xfffe
	s_xor_b32 s20, exec_lo, s2
	s_cbranch_execz .LBB0_4
; %bb.3:                                ;   in Loop: Header=BB0_2 Depth=1
	s_cvt_f32_u32 s2, s18
	s_cvt_f32_u32 s21, s19
	s_sub_nc_u64 s[24:25], 0, s[18:19]
	s_wait_alu 0xfffe
	s_delay_alu instid0(SALU_CYCLE_1) | instskip(SKIP_1) | instid1(SALU_CYCLE_2)
	s_fmamk_f32 s2, s21, 0x4f800000, s2
	s_wait_alu 0xfffe
	v_s_rcp_f32 s2, s2
	s_delay_alu instid0(TRANS32_DEP_1) | instskip(SKIP_1) | instid1(SALU_CYCLE_2)
	s_mul_f32 s2, s2, 0x5f7ffffc
	s_wait_alu 0xfffe
	s_mul_f32 s21, s2, 0x2f800000
	s_wait_alu 0xfffe
	s_delay_alu instid0(SALU_CYCLE_2) | instskip(SKIP_1) | instid1(SALU_CYCLE_2)
	s_trunc_f32 s21, s21
	s_wait_alu 0xfffe
	s_fmamk_f32 s2, s21, 0xcf800000, s2
	s_cvt_u32_f32 s23, s21
	s_wait_alu 0xfffe
	s_delay_alu instid0(SALU_CYCLE_1) | instskip(SKIP_1) | instid1(SALU_CYCLE_2)
	s_cvt_u32_f32 s22, s2
	s_wait_alu 0xfffe
	s_mul_u64 s[26:27], s[24:25], s[22:23]
	s_wait_alu 0xfffe
	s_mul_hi_u32 s29, s22, s27
	s_mul_i32 s28, s22, s27
	s_mul_hi_u32 s2, s22, s26
	s_mul_i32 s30, s23, s26
	s_wait_alu 0xfffe
	s_add_nc_u64 s[28:29], s[2:3], s[28:29]
	s_mul_hi_u32 s21, s23, s26
	s_mul_hi_u32 s31, s23, s27
	s_add_co_u32 s2, s28, s30
	s_wait_alu 0xfffe
	s_add_co_ci_u32 s2, s29, s21
	s_mul_i32 s26, s23, s27
	s_add_co_ci_u32 s27, s31, 0
	s_wait_alu 0xfffe
	s_add_nc_u64 s[26:27], s[2:3], s[26:27]
	s_wait_alu 0xfffe
	v_add_co_u32 v4, s2, s22, s26
	s_delay_alu instid0(VALU_DEP_1) | instskip(SKIP_1) | instid1(VALU_DEP_1)
	s_cmp_lg_u32 s2, 0
	s_add_co_ci_u32 s23, s23, s27
	v_readfirstlane_b32 s22, v4
	s_wait_alu 0xfffe
	s_delay_alu instid0(VALU_DEP_1)
	s_mul_u64 s[24:25], s[24:25], s[22:23]
	s_wait_alu 0xfffe
	s_mul_hi_u32 s27, s22, s25
	s_mul_i32 s26, s22, s25
	s_mul_hi_u32 s2, s22, s24
	s_mul_i32 s28, s23, s24
	s_wait_alu 0xfffe
	s_add_nc_u64 s[26:27], s[2:3], s[26:27]
	s_mul_hi_u32 s21, s23, s24
	s_mul_hi_u32 s22, s23, s25
	s_wait_alu 0xfffe
	s_add_co_u32 s2, s26, s28
	s_add_co_ci_u32 s2, s27, s21
	s_mul_i32 s24, s23, s25
	s_add_co_ci_u32 s25, s22, 0
	s_wait_alu 0xfffe
	s_add_nc_u64 s[24:25], s[2:3], s[24:25]
	s_wait_alu 0xfffe
	v_add_co_u32 v4, s2, v4, s24
	s_delay_alu instid0(VALU_DEP_1) | instskip(SKIP_1) | instid1(VALU_DEP_1)
	s_cmp_lg_u32 s2, 0
	s_add_co_ci_u32 s2, s23, s25
	v_mul_hi_u32 v13, v5, v4
	s_wait_alu 0xfffe
	v_mad_co_u64_u32 v[7:8], null, v5, s2, 0
	v_mad_co_u64_u32 v[9:10], null, v6, v4, 0
	;; [unrolled: 1-line block ×3, first 2 shown]
	s_delay_alu instid0(VALU_DEP_3) | instskip(SKIP_1) | instid1(VALU_DEP_4)
	v_add_co_u32 v4, vcc_lo, v13, v7
	s_wait_alu 0xfffd
	v_add_co_ci_u32_e32 v7, vcc_lo, 0, v8, vcc_lo
	s_delay_alu instid0(VALU_DEP_2) | instskip(SKIP_1) | instid1(VALU_DEP_2)
	v_add_co_u32 v4, vcc_lo, v4, v9
	s_wait_alu 0xfffd
	v_add_co_ci_u32_e32 v4, vcc_lo, v7, v10, vcc_lo
	s_wait_alu 0xfffd
	v_add_co_ci_u32_e32 v7, vcc_lo, 0, v12, vcc_lo
	s_delay_alu instid0(VALU_DEP_2) | instskip(SKIP_1) | instid1(VALU_DEP_2)
	v_add_co_u32 v4, vcc_lo, v4, v11
	s_wait_alu 0xfffd
	v_add_co_ci_u32_e32 v9, vcc_lo, 0, v7, vcc_lo
	s_delay_alu instid0(VALU_DEP_2) | instskip(SKIP_1) | instid1(VALU_DEP_3)
	v_mul_lo_u32 v10, s19, v4
	v_mad_co_u64_u32 v[7:8], null, s18, v4, 0
	v_mul_lo_u32 v11, s18, v9
	s_delay_alu instid0(VALU_DEP_2) | instskip(NEXT) | instid1(VALU_DEP_2)
	v_sub_co_u32 v7, vcc_lo, v5, v7
	v_add3_u32 v8, v8, v11, v10
	s_delay_alu instid0(VALU_DEP_1) | instskip(SKIP_1) | instid1(VALU_DEP_1)
	v_sub_nc_u32_e32 v10, v6, v8
	s_wait_alu 0xfffd
	v_subrev_co_ci_u32_e64 v10, s2, s19, v10, vcc_lo
	v_add_co_u32 v11, s2, v4, 2
	s_wait_alu 0xf1ff
	v_add_co_ci_u32_e64 v12, s2, 0, v9, s2
	v_sub_co_u32 v13, s2, v7, s18
	v_sub_co_ci_u32_e32 v8, vcc_lo, v6, v8, vcc_lo
	s_wait_alu 0xf1ff
	v_subrev_co_ci_u32_e64 v10, s2, 0, v10, s2
	s_delay_alu instid0(VALU_DEP_3) | instskip(NEXT) | instid1(VALU_DEP_3)
	v_cmp_le_u32_e32 vcc_lo, s18, v13
	v_cmp_eq_u32_e64 s2, s19, v8
	s_wait_alu 0xfffd
	v_cndmask_b32_e64 v13, 0, -1, vcc_lo
	v_cmp_le_u32_e32 vcc_lo, s19, v10
	s_wait_alu 0xfffd
	v_cndmask_b32_e64 v14, 0, -1, vcc_lo
	v_cmp_le_u32_e32 vcc_lo, s18, v7
	;; [unrolled: 3-line block ×3, first 2 shown]
	s_wait_alu 0xfffd
	v_cndmask_b32_e64 v15, 0, -1, vcc_lo
	v_cmp_eq_u32_e32 vcc_lo, s19, v10
	s_wait_alu 0xf1ff
	s_delay_alu instid0(VALU_DEP_2)
	v_cndmask_b32_e64 v7, v15, v7, s2
	s_wait_alu 0xfffd
	v_cndmask_b32_e32 v10, v14, v13, vcc_lo
	v_add_co_u32 v13, vcc_lo, v4, 1
	s_wait_alu 0xfffd
	v_add_co_ci_u32_e32 v14, vcc_lo, 0, v9, vcc_lo
	s_delay_alu instid0(VALU_DEP_3) | instskip(SKIP_2) | instid1(VALU_DEP_3)
	v_cmp_ne_u32_e32 vcc_lo, 0, v10
	s_wait_alu 0xfffd
	v_cndmask_b32_e32 v10, v13, v11, vcc_lo
	v_cndmask_b32_e32 v8, v14, v12, vcc_lo
	v_cmp_ne_u32_e32 vcc_lo, 0, v7
	s_wait_alu 0xfffd
	s_delay_alu instid0(VALU_DEP_2)
	v_dual_cndmask_b32 v7, v4, v10 :: v_dual_cndmask_b32 v8, v9, v8
.LBB0_4:                                ;   in Loop: Header=BB0_2 Depth=1
	s_wait_alu 0xfffe
	s_and_not1_saveexec_b32 s2, s20
	s_cbranch_execz .LBB0_6
; %bb.5:                                ;   in Loop: Header=BB0_2 Depth=1
	v_cvt_f32_u32_e32 v4, s18
	s_sub_co_i32 s20, 0, s18
	s_delay_alu instid0(VALU_DEP_1) | instskip(NEXT) | instid1(TRANS32_DEP_1)
	v_rcp_iflag_f32_e32 v4, v4
	v_mul_f32_e32 v4, 0x4f7ffffe, v4
	s_delay_alu instid0(VALU_DEP_1) | instskip(SKIP_1) | instid1(VALU_DEP_1)
	v_cvt_u32_f32_e32 v4, v4
	s_wait_alu 0xfffe
	v_mul_lo_u32 v7, s20, v4
	s_delay_alu instid0(VALU_DEP_1) | instskip(NEXT) | instid1(VALU_DEP_1)
	v_mul_hi_u32 v7, v4, v7
	v_add_nc_u32_e32 v4, v4, v7
	s_delay_alu instid0(VALU_DEP_1) | instskip(NEXT) | instid1(VALU_DEP_1)
	v_mul_hi_u32 v4, v5, v4
	v_mul_lo_u32 v7, v4, s18
	v_add_nc_u32_e32 v8, 1, v4
	s_delay_alu instid0(VALU_DEP_2) | instskip(NEXT) | instid1(VALU_DEP_1)
	v_sub_nc_u32_e32 v7, v5, v7
	v_subrev_nc_u32_e32 v9, s18, v7
	v_cmp_le_u32_e32 vcc_lo, s18, v7
	s_wait_alu 0xfffd
	s_delay_alu instid0(VALU_DEP_2) | instskip(NEXT) | instid1(VALU_DEP_1)
	v_dual_cndmask_b32 v7, v7, v9 :: v_dual_cndmask_b32 v4, v4, v8
	v_cmp_le_u32_e32 vcc_lo, s18, v7
	s_delay_alu instid0(VALU_DEP_2) | instskip(SKIP_1) | instid1(VALU_DEP_1)
	v_add_nc_u32_e32 v8, 1, v4
	s_wait_alu 0xfffd
	v_dual_cndmask_b32 v7, v4, v8 :: v_dual_mov_b32 v8, v3
.LBB0_6:                                ;   in Loop: Header=BB0_2 Depth=1
	s_wait_alu 0xfffe
	s_or_b32 exec_lo, exec_lo, s2
	s_load_b64 s[20:21], s[12:13], 0x0
	s_delay_alu instid0(VALU_DEP_1)
	v_mul_lo_u32 v4, v8, s18
	v_mul_lo_u32 v11, v7, s19
	v_mad_co_u64_u32 v[9:10], null, v7, s18, 0
	s_add_nc_u64 s[14:15], s[14:15], 1
	s_add_nc_u64 s[12:13], s[12:13], 8
	s_wait_alu 0xfffe
	v_cmp_ge_u64_e64 s2, s[14:15], s[6:7]
	s_add_nc_u64 s[16:17], s[16:17], 8
	s_delay_alu instid0(VALU_DEP_2) | instskip(NEXT) | instid1(VALU_DEP_3)
	v_add3_u32 v4, v10, v11, v4
	v_sub_co_u32 v5, vcc_lo, v5, v9
	s_wait_alu 0xfffd
	s_delay_alu instid0(VALU_DEP_2) | instskip(SKIP_3) | instid1(VALU_DEP_2)
	v_sub_co_ci_u32_e32 v4, vcc_lo, v6, v4, vcc_lo
	s_and_b32 vcc_lo, exec_lo, s2
	s_wait_kmcnt 0x0
	v_mul_lo_u32 v6, s21, v5
	v_mul_lo_u32 v4, s20, v4
	v_mad_co_u64_u32 v[1:2], null, s20, v5, v[1:2]
	s_delay_alu instid0(VALU_DEP_1)
	v_add3_u32 v2, v6, v2, v4
	s_wait_alu 0xfffe
	s_cbranch_vccnz .LBB0_9
; %bb.7:                                ;   in Loop: Header=BB0_2 Depth=1
	v_dual_mov_b32 v5, v7 :: v_dual_mov_b32 v6, v8
	s_branch .LBB0_2
.LBB0_8:
	v_dual_mov_b32 v8, v6 :: v_dual_mov_b32 v7, v5
.LBB0_9:
	s_lshl_b64 s[2:3], s[6:7], 3
	v_mul_hi_u32 v5, 0x2222223, v0
	s_wait_alu 0xfffe
	s_add_nc_u64 s[2:3], s[10:11], s[2:3]
                                        ; implicit-def: $vgpr10_vgpr11
                                        ; implicit-def: $vgpr18_vgpr19
                                        ; implicit-def: $vgpr30_vgpr31
                                        ; implicit-def: $vgpr34_vgpr35
                                        ; implicit-def: $vgpr42_vgpr43
                                        ; implicit-def: $vgpr22_vgpr23
                                        ; implicit-def: $vgpr38_vgpr39
                                        ; implicit-def: $vgpr26_vgpr27
                                        ; implicit-def: $vgpr14_vgpr15
                                        ; implicit-def: $vgpr46_vgpr47
                                        ; implicit-def: $vgpr66_vgpr67
                                        ; implicit-def: $vgpr54_vgpr55
                                        ; implicit-def: $vgpr98_vgpr99
                                        ; implicit-def: $vgpr82_vgpr83
                                        ; implicit-def: $vgpr90_vgpr91
                                        ; implicit-def: $vgpr110_vgpr111
                                        ; implicit-def: $vgpr94_vgpr95
                                        ; implicit-def: $vgpr78_vgpr79
                                        ; implicit-def: $vgpr62_vgpr63
                                        ; implicit-def: $vgpr50_vgpr51
                                        ; implicit-def: $vgpr70_vgpr71
                                        ; implicit-def: $vgpr58_vgpr59
                                        ; implicit-def: $vgpr106_vgpr107
                                        ; implicit-def: $vgpr86_vgpr87
                                        ; implicit-def: $vgpr118_vgpr119
                                        ; implicit-def: $vgpr114_vgpr115
                                        ; implicit-def: $vgpr102_vgpr103
                                        ; implicit-def: $vgpr74_vgpr75
	s_load_b64 s[2:3], s[2:3], 0x0
	s_load_b64 s[0:1], s[0:1], 0x20
	s_wait_kmcnt 0x0
	v_mul_lo_u32 v3, s2, v8
	v_mul_lo_u32 v4, s3, v7
	v_mad_co_u64_u32 v[1:2], null, s2, v7, v[1:2]
	v_cmp_gt_u64_e32 vcc_lo, s[0:1], v[7:8]
                                        ; implicit-def: $vgpr6_vgpr7
	s_delay_alu instid0(VALU_DEP_2) | instskip(SKIP_1) | instid1(VALU_DEP_2)
	v_add3_u32 v2, v4, v2, v3
	v_mul_u32_u24_e32 v3, 0x78, v5
	v_lshlrev_b64_e32 v[126:127], 4, v[1:2]
	s_delay_alu instid0(VALU_DEP_2)
	v_sub_nc_u32_e32 v124, v0, v3
                                        ; implicit-def: $vgpr2_vgpr3
	s_and_saveexec_b32 s1, vcc_lo
; %bb.10:
	v_mov_b32_e32 v125, 0
	s_delay_alu instid0(VALU_DEP_3) | instskip(SKIP_2) | instid1(VALU_DEP_3)
	v_add_co_u32 v2, s0, s8, v126
	s_wait_alu 0xf1ff
	v_add_co_ci_u32_e64 v3, s0, s9, v127, s0
	v_lshlrev_b64_e32 v[0:1], 4, v[124:125]
	s_delay_alu instid0(VALU_DEP_1) | instskip(SKIP_1) | instid1(VALU_DEP_2)
	v_add_co_u32 v0, s0, v2, v0
	s_wait_alu 0xf1ff
	v_add_co_ci_u32_e64 v1, s0, v3, v1, s0
	s_clause 0x1d
	global_load_b128 v[72:75], v[0:1], off
	global_load_b128 v[76:79], v[0:1], off offset:1920
	global_load_b128 v[112:115], v[0:1], off offset:11520
	;; [unrolled: 1-line block ×29, first 2 shown]
; %bb.11:
	s_wait_alu 0xfffe
	s_or_b32 exec_lo, exec_lo, s1
	s_wait_loadcnt 0x7
	v_add_f64_e32 v[128:129], v[68:69], v[104:105]
	s_wait_loadcnt 0x3
	v_add_f64_e32 v[130:131], v[60:61], v[116:117]
	v_add_f64_e32 v[136:137], v[116:117], v[100:101]
	;; [unrolled: 1-line block ×8, first 2 shown]
	v_add_f64_e64 v[182:183], v[118:119], -v[62:63]
	v_add_f64_e32 v[160:161], v[62:63], v[118:119]
	v_add_f64_e64 v[192:193], v[106:107], -v[70:71]
	s_mov_b32 s10, 0x134454ff
	s_mov_b32 s11, 0x3fee6f0e
	;; [unrolled: 1-line block ×4, first 2 shown]
	v_add_f64_e32 v[132:133], v[112:113], v[72:73]
	v_add_f64_e32 v[134:135], v[114:115], v[74:75]
	;; [unrolled: 1-line block ×3, first 2 shown]
	v_add_f64_e64 v[154:155], v[112:113], -v[84:85]
	v_add_f64_e64 v[156:157], v[84:85], -v[112:113]
	;; [unrolled: 1-line block ×12, first 2 shown]
	v_add_f64_e32 v[210:211], v[64:65], v[96:97]
	s_wait_loadcnt 0x1
	v_add_f64_e32 v[212:213], v[12:13], v[88:89]
	v_add_f64_e32 v[170:171], v[46:47], v[110:111]
	v_add_f64_e64 v[198:199], v[60:61], -v[68:69]
	v_add_f64_e64 v[200:201], v[68:69], -v[60:61]
	s_mov_b32 s6, 0x4755a5e
	s_mov_b32 s7, 0x3fe2cf23
	v_fma_f64 v[190:191], v[128:129], -0.5, v[100:101]
	v_fma_f64 v[194:195], v[130:131], -0.5, v[100:101]
	v_add_f64_e32 v[104:105], v[104:105], v[136:137]
	v_add_f64_e32 v[106:107], v[106:107], v[138:139]
	v_fma_f64 v[222:223], v[144:145], -0.5, v[72:73]
	v_fma_f64 v[224:225], v[146:147], -0.5, v[72:73]
	;; [unrolled: 1-line block ×5, first 2 shown]
	s_mov_b32 s3, 0xbfe2cf23
	v_fma_f64 v[160:161], v[160:161], -0.5, v[102:103]
	s_wait_alu 0xfffe
	s_mov_b32 s2, s6
	v_add_f64_e32 v[140:141], v[108:109], v[76:77]
	v_add_f64_e64 v[162:163], v[114:115], -v[86:87]
	v_add_f64_e32 v[164:165], v[52:53], v[80:81]
	v_add_f64_e32 v[166:167], v[44:45], v[108:109]
	;; [unrolled: 1-line block ×3, first 2 shown]
	v_add_f64_e64 v[172:173], v[86:87], -v[114:115]
	v_add_f64_e64 v[122:123], v[86:87], -v[58:59]
	;; [unrolled: 1-line block ×7, first 2 shown]
	v_add_f64_e32 v[130:131], v[86:87], v[134:135]
	v_add_f64_e64 v[86:87], v[82:83], -v[54:55]
	v_add_f64_e32 v[218:219], v[88:89], v[92:93]
	v_add_f64_e32 v[134:135], v[82:83], v[142:143]
	;; [unrolled: 1-line block ×5, first 2 shown]
	v_fma_f64 v[150:151], v[210:211], -0.5, v[92:93]
	v_fma_f64 v[146:147], v[212:213], -0.5, v[92:93]
	v_add_f64_e32 v[92:93], v[174:175], v[154:155]
	v_add_f64_e32 v[154:155], v[202:203], v[188:189]
	v_add_f64_e64 v[120:121], v[114:115], -v[50:51]
	v_add_f64_e64 v[206:207], v[108:109], -v[80:81]
	;; [unrolled: 1-line block ×3, first 2 shown]
	v_fma_f64 v[74:75], v[182:183], s[10:11], v[190:191]
	v_fma_f64 v[158:159], v[182:183], s[0:1], v[190:191]
	;; [unrolled: 1-line block ×4, first 2 shown]
	v_fma_f64 v[102:103], v[170:171], -0.5, v[78:79]
	v_add_f64_e64 v[170:171], v[90:91], -v[98:99]
	v_add_f64_e32 v[174:175], v[198:199], v[184:185]
	v_add_f64_e32 v[184:185], v[200:201], v[186:187]
	v_fma_f64 v[196:197], v[116:117], s[0:1], v[72:73]
	v_add_f64_e64 v[188:189], v[14:15], -v[66:67]
	v_add_f64_e64 v[208:209], v[80:81], -v[108:109]
	v_add_f64_e32 v[214:215], v[66:67], v[98:99]
	v_add_f64_e64 v[228:229], v[52:53], -v[44:45]
	v_add_f64_e64 v[112:113], v[112:113], -v[48:49]
	;; [unrolled: 1-line block ×3, first 2 shown]
	v_add_f64_e32 v[128:129], v[84:85], v[132:133]
	v_add_f64_e32 v[216:217], v[14:15], v[90:91]
	v_add_f64_e64 v[84:85], v[80:81], -v[52:53]
	v_add_f64_e32 v[132:133], v[80:81], v[140:141]
	v_fma_f64 v[148:149], v[164:165], -0.5, v[76:77]
	v_fma_f64 v[144:145], v[166:167], -0.5, v[76:77]
	;; [unrolled: 1-line block ×3, first 2 shown]
	v_add_f64_e64 v[164:165], v[54:55], -v[46:47]
	v_add_f64_e64 v[78:79], v[98:99], -v[66:67]
	;; [unrolled: 1-line block ×6, first 2 shown]
	v_add_f64_e32 v[198:199], v[96:97], v[218:219]
	v_add_f64_e32 v[200:201], v[98:99], v[220:221]
	v_add_f64_e64 v[98:99], v[98:99], -v[90:91]
	v_add_f64_e64 v[96:97], v[90:91], -v[14:15]
	;; [unrolled: 1-line block ×3, first 2 shown]
	v_add_f64_e32 v[88:89], v[178:179], v[162:163]
	v_add_f64_e32 v[76:77], v[180:181], v[172:173]
	s_wait_loadcnt 0x0
	v_add_f64_e32 v[162:163], v[0:1], v[40:41]
	v_add_f64_e32 v[172:173], v[8:9], v[28:29]
	v_fma_f64 v[212:213], v[122:123], s[10:11], v[224:225]
	v_fma_f64 v[202:203], v[192:193], s[6:7], v[74:75]
	s_wait_alu 0xfffe
	v_fma_f64 v[158:159], v[192:193], s[2:3], v[158:159]
	v_fma_f64 v[192:193], v[116:117], s[10:11], v[72:73]
	;; [unrolled: 1-line block ×6, first 2 shown]
	v_add_f64_e64 v[108:109], v[108:109], -v[44:45]
	v_fma_f64 v[196:197], v[118:119], s[2:3], v[196:197]
	s_mov_b32 s12, 0x372fe950
	s_mov_b32 s13, 0x3fd3c6ef
	v_add_f64_e32 v[74:75], v[226:227], v[206:207]
	v_add_f64_e64 v[178:179], v[28:29], -v[40:41]
	v_add_f64_e64 v[180:181], v[8:9], -v[0:1]
	v_add_f64_e32 v[206:207], v[10:11], v[30:31]
	v_add_f64_e32 v[170:171], v[188:189], v[170:171]
	v_fma_f64 v[188:189], v[120:121], s[10:11], v[222:223]
	v_fma_f64 v[142:143], v[214:215], -0.5, v[94:95]
	v_add_f64_e64 v[186:187], v[64:65], -v[12:13]
	v_add_f64_e64 v[204:205], v[66:67], -v[14:15]
	v_add_f64_e32 v[72:73], v[228:229], v[208:209]
	v_add_f64_e32 v[208:209], v[2:3], v[42:43]
	v_fma_f64 v[210:211], v[120:121], s[0:1], v[222:223]
	v_add_f64_e64 v[230:231], v[46:47], -v[54:55]
	v_add_f64_e32 v[110:111], v[164:165], v[110:111]
	v_add_f64_e64 v[164:165], v[30:31], -v[10:11]
	v_add_f64_e32 v[56:57], v[56:57], v[128:129]
	v_add_f64_e32 v[166:167], v[176:177], v[166:167]
	v_add_f64_e64 v[176:177], v[42:43], -v[2:3]
	v_add_f64_e32 v[58:59], v[58:59], v[130:131]
	v_add_f64_e32 v[68:69], v[68:69], v[104:105]
	;; [unrolled: 1-line block ×5, first 2 shown]
	v_fma_f64 v[104:105], v[112:113], s[0:1], v[138:139]
	v_fma_f64 v[162:163], v[162:163], -0.5, v[36:37]
	v_fma_f64 v[172:173], v[172:173], -0.5, v[36:37]
	v_fma_f64 v[106:107], v[112:113], s[10:11], v[138:139]
	v_fma_f64 v[202:203], v[174:175], s[12:13], v[202:203]
	;; [unrolled: 1-line block ×14, first 2 shown]
	v_fma_f64 v[94:95], v[216:217], -0.5, v[94:95]
	v_fma_f64 v[144:145], v[108:109], s[0:1], v[140:141]
	v_fma_f64 v[140:141], v[108:109], s[10:11], v[140:141]
	s_mov_b32 s14, 0x9b97f4a8
	s_mov_b32 s15, 0x3fe9e377
	v_fma_f64 v[158:159], v[174:175], s[12:13], v[158:159]
	v_add_f64_e32 v[178:179], v[180:181], v[178:179]
	v_fma_f64 v[180:181], v[206:207], -0.5, v[38:39]
	v_add_f64_e32 v[64:65], v[64:65], v[198:199]
	v_fma_f64 v[148:149], v[84:85], s[10:11], v[102:103]
	v_fma_f64 v[102:103], v[84:85], s[0:1], v[102:103]
	;; [unrolled: 1-line block ×5, first 2 shown]
	v_add_f64_e32 v[168:169], v[186:187], v[168:169]
	v_add_f64_e32 v[186:187], v[16:17], v[32:33]
	v_add_f64_e64 v[184:185], v[40:41], -v[0:1]
	v_add_f64_e64 v[174:175], v[28:29], -v[8:9]
	v_add_f64_e32 v[98:99], v[204:205], v[98:99]
	v_fma_f64 v[204:205], v[208:209], -0.5, v[38:39]
	v_add_f64_e32 v[66:67], v[66:67], v[200:201]
	v_fma_f64 v[122:123], v[122:123], s[2:3], v[210:211]
	v_fma_f64 v[208:209], v[78:79], s[0:1], v[146:147]
	;; [unrolled: 1-line block ×4, first 2 shown]
	s_wait_alu 0xfffe
	v_mul_f64_e32 v[198:199], s[14:15], v[202:203]
	v_fma_f64 v[142:143], v[90:91], s[10:11], v[142:143]
	v_fma_f64 v[118:119], v[154:155], s[12:13], v[118:119]
	;; [unrolled: 1-line block ×4, first 2 shown]
	v_mul_f64_e32 v[154:155], s[12:13], v[182:183]
	v_fma_f64 v[116:117], v[156:157], s[12:13], v[116:117]
	v_fma_f64 v[194:195], v[156:157], s[12:13], v[194:195]
	v_mul_f64_e32 v[200:201], s[12:13], v[190:191]
	v_fma_f64 v[150:151], v[96:97], s[0:1], v[150:151]
	v_add_f64_e32 v[48:49], v[48:49], v[56:57]
	v_add_f64_e32 v[214:215], v[50:51], v[58:59]
	v_fma_f64 v[50:51], v[164:165], s[0:1], v[162:163]
	v_fma_f64 v[56:57], v[164:165], s[10:11], v[162:163]
	v_add_f64_e32 v[58:59], v[60:61], v[68:69]
	v_add_f64_e32 v[68:69], v[62:63], v[70:71]
	;; [unrolled: 1-line block ×3, first 2 shown]
	v_fma_f64 v[52:53], v[114:115], s[6:7], v[106:107]
	v_add_f64_e32 v[106:107], v[46:47], v[54:55]
	v_fma_f64 v[46:47], v[112:113], s[2:3], v[128:129]
	v_fma_f64 v[54:55], v[112:113], s[6:7], v[130:131]
	;; [unrolled: 1-line block ×6, first 2 shown]
	v_add_f64_e64 v[128:129], v[0:1], -v[8:9]
	v_fma_f64 v[136:137], v[176:177], s[10:11], v[172:173]
	v_add_f64_e32 v[160:161], v[4:5], v[20:21]
	v_fma_f64 v[212:213], v[80:81], s[10:11], v[94:95]
	v_fma_f64 v[94:95], v[80:81], s[0:1], v[94:95]
	v_add_f64_e32 v[152:153], v[230:231], v[152:153]
	v_fma_f64 v[100:101], v[84:85], s[2:3], v[144:145]
	v_fma_f64 v[84:85], v[84:85], s[6:7], v[140:141]
	;; [unrolled: 1-line block ×3, first 2 shown]
	v_mul_f64_e32 v[156:157], s[14:15], v[158:159]
	v_fma_f64 v[44:45], v[114:115], s[2:3], v[104:105]
	v_fma_f64 v[104:105], v[108:109], s[2:3], v[148:149]
	;; [unrolled: 1-line block ×8, first 2 shown]
	v_add_f64_e64 v[120:121], v[40:41], -v[28:29]
	v_fma_f64 v[130:131], v[116:117], s[10:11], -v[154:155]
	v_add_f64_e32 v[144:145], v[18:19], v[34:35]
	v_fma_f64 v[92:93], v[92:93], s[12:13], v[122:123]
	v_fma_f64 v[122:123], v[194:195], s[10:11], v[200:201]
	;; [unrolled: 1-line block ×6, first 2 shown]
	v_add_f64_e32 v[142:143], v[6:7], v[22:23]
	v_add_f64_e64 v[188:189], v[22:23], -v[6:7]
	v_add_f64_e64 v[192:193], v[42:43], -v[30:31]
	;; [unrolled: 1-line block ×5, first 2 shown]
	v_fma_f64 v[186:187], v[186:187], -0.5, v[24:25]
	v_fma_f64 v[208:209], v[174:175], s[0:1], v[204:205]
	v_fma_f64 v[210:211], v[184:185], s[10:11], v[180:181]
	v_fma_f64 v[78:79], v[78:79], s[2:3], v[150:151]
	v_add_f64_e32 v[154:155], v[20:21], v[24:25]
	v_fma_f64 v[216:217], v[72:73], s[12:13], v[70:71]
	v_fma_f64 v[86:87], v[72:73], s[12:13], v[86:87]
	v_add_f64_e32 v[36:37], v[40:41], v[36:37]
	v_fma_f64 v[40:41], v[184:185], s[0:1], v[180:181]
	v_fma_f64 v[72:73], v[174:175], s[10:11], v[204:205]
	;; [unrolled: 1-line block ×8, first 2 shown]
	v_fma_f64 v[60:61], v[160:161], -0.5, v[24:25]
	v_add_f64_e64 v[62:63], v[34:35], -v[18:19]
	v_add_f64_e32 v[172:173], v[22:23], v[26:27]
	v_fma_f64 v[132:133], v[118:119], s[6:7], -v[156:157]
	v_fma_f64 v[156:157], v[88:89], s[12:13], v[44:45]
	v_fma_f64 v[88:89], v[88:89], s[12:13], v[52:53]
	;; [unrolled: 1-line block ×3, first 2 shown]
	v_add_f64_e32 v[70:71], v[128:129], v[120:121]
	v_fma_f64 v[120:121], v[164:165], s[6:7], v[136:137]
	v_fma_f64 v[136:137], v[152:153], s[12:13], v[84:85]
	;; [unrolled: 1-line block ×3, first 2 shown]
	v_add_f64_e32 v[44:45], v[58:59], v[48:49]
	v_add_f64_e64 v[50:51], v[48:49], -v[58:59]
	v_add_f64_e32 v[46:47], v[108:109], v[114:115]
	v_add_f64_e64 v[52:53], v[108:109], -v[114:115]
	v_fma_f64 v[108:109], v[144:145], -0.5, v[26:27]
	v_add_f64_e64 v[114:115], v[20:21], -v[4:5]
	v_add_f64_e32 v[58:59], v[82:83], v[130:131]
	v_add_f64_e64 v[24:25], v[82:83], -v[130:131]
	v_fma_f64 v[82:83], v[166:167], s[12:13], v[134:135]
	v_add_f64_e32 v[38:39], v[42:43], v[38:39]
	v_fma_f64 v[76:77], v[76:77], s[12:13], v[54:55]
	v_fma_f64 v[100:101], v[152:153], s[12:13], v[100:101]
	v_add_f64_e64 v[54:55], v[112:113], -v[122:123]
	v_add_f64_e32 v[56:57], v[112:113], v[122:123]
	v_add_f64_e64 v[112:113], v[20:21], -v[32:33]
	v_add_f64_e64 v[122:123], v[4:5], -v[16:17]
	v_fma_f64 v[26:27], v[142:143], -0.5, v[26:27]
	v_add_f64_e64 v[128:129], v[32:33], -v[16:17]
	v_add_f64_e32 v[42:43], v[198:199], v[192:193]
	v_add_f64_e32 v[130:131], v[206:207], v[200:201]
	v_fma_f64 v[134:135], v[188:189], s[10:11], v[186:187]
	v_fma_f64 v[140:141], v[184:185], s[6:7], v[208:209]
	;; [unrolled: 1-line block ×5, first 2 shown]
	v_add_f64_e64 v[20:21], v[32:33], -v[20:21]
	v_add_f64_e64 v[152:153], v[16:17], -v[4:5]
	v_fma_f64 v[96:97], v[168:169], s[12:13], v[96:97]
	v_fma_f64 v[78:79], v[166:167], s[12:13], v[78:79]
	v_add_f64_e32 v[32:33], v[32:33], v[154:155]
	v_add_f64_e32 v[28:29], v[28:29], v[36:37]
	v_fma_f64 v[36:37], v[174:175], s[2:3], v[40:41]
	v_fma_f64 v[40:41], v[184:185], s[2:3], v[72:73]
	;; [unrolled: 1-line block ×8, first 2 shown]
	v_add_f64_e32 v[150:151], v[34:35], v[172:173]
	v_fma_f64 v[90:91], v[98:99], s[12:13], v[90:91]
	v_fma_f64 v[146:147], v[170:171], s[12:13], v[146:147]
	v_add_f64_e64 v[70:71], v[22:23], -v[34:35]
	v_add_f64_e64 v[160:161], v[6:7], -v[18:19]
	v_fma_f64 v[80:81], v[170:171], s[12:13], v[80:81]
	v_fma_f64 v[164:165], v[114:115], s[0:1], v[108:109]
	;; [unrolled: 1-line block ×3, first 2 shown]
	v_add_f64_e32 v[30:31], v[30:31], v[38:39]
	v_mul_f64_e32 v[38:39], s[14:15], v[82:83]
	v_add_f64_e64 v[22:23], v[34:35], -v[22:23]
	v_fma_f64 v[98:99], v[98:99], s[12:13], v[148:149]
	v_mul_f64_e32 v[116:117], s[12:13], v[116:117]
	v_mul_f64_e32 v[118:119], s[14:15], v[118:119]
	v_add_f64_e32 v[112:113], v[122:123], v[112:113]
	v_add_f64_e64 v[122:123], v[18:19], -v[6:7]
	v_fma_f64 v[166:167], v[128:129], s[10:11], v[26:27]
	v_fma_f64 v[168:169], v[128:129], s[0:1], v[26:27]
	v_mul_f64_e32 v[34:35], s[2:3], v[202:203]
	v_fma_f64 v[134:135], v[62:63], s[6:7], v[134:135]
	v_fma_f64 v[140:141], v[130:131], s[12:13], v[140:141]
	v_fma_f64 v[142:143], v[42:43], s[12:13], v[142:143]
	v_fma_f64 v[62:63], v[62:63], s[2:3], v[144:145]
	v_mul_f64_e32 v[144:145], s[12:13], v[138:139]
	v_mul_f64_e32 v[148:149], s[0:1], v[190:191]
	v_add_f64_e32 v[20:21], v[152:153], v[20:21]
	v_mul_f64_e32 v[152:153], s[12:13], v[96:97]
	v_mul_f64_e32 v[170:171], s[14:15], v[78:79]
	v_add_f64_e32 v[16:17], v[16:17], v[32:33]
	v_add_f64_e32 v[8:9], v[8:9], v[28:29]
	v_fma_f64 v[28:29], v[42:43], s[12:13], v[36:37]
	v_fma_f64 v[36:37], v[130:131], s[12:13], v[40:41]
	;; [unrolled: 1-line block ×4, first 2 shown]
	v_mul_f64_e32 v[40:41], s[14:15], v[72:73]
	v_mul_f64_e32 v[42:43], s[12:13], v[94:95]
	;; [unrolled: 1-line block ×6, first 2 shown]
	v_add_f64_e32 v[18:19], v[18:19], v[150:151]
	v_mul_f64_e32 v[150:151], s[12:13], v[90:91]
	v_add_f64_e32 v[70:71], v[160:161], v[70:71]
	v_mul_f64_e32 v[160:161], s[14:15], v[80:81]
	v_fma_f64 v[164:165], v[128:129], s[2:3], v[164:165]
	v_fma_f64 v[108:109], v[128:129], s[6:7], v[108:109]
	v_add_f64_e32 v[10:11], v[10:11], v[30:31]
	v_add_f64_e32 v[12:13], v[12:13], v[64:65]
	;; [unrolled: 1-line block ×3, first 2 shown]
	v_fma_f64 v[14:15], v[146:147], s[6:7], v[38:39]
	v_add_f64_e32 v[48:49], v[92:93], v[132:133]
	v_add_f64_e64 v[26:27], v[92:93], -v[132:133]
	v_fma_f64 v[92:93], v[110:111], s[12:13], v[104:105]
	v_fma_f64 v[102:103], v[110:111], s[12:13], v[102:103]
	v_fma_f64 v[110:111], v[182:183], s[0:1], -v[116:117]
	v_fma_f64 v[116:117], v[158:159], s[2:3], -v[118:119]
	v_add_f64_e32 v[22:23], v[122:123], v[22:23]
	v_fma_f64 v[118:119], v[114:115], s[2:3], v[166:167]
	v_mul_f64_e32 v[30:31], s[2:3], v[72:73]
	v_fma_f64 v[72:73], v[114:115], s[6:7], v[168:169]
	v_mul_f64_e32 v[114:115], s[12:13], v[140:141]
	v_mul_f64_e32 v[122:123], s[14:15], v[142:143]
	v_fma_f64 v[38:39], v[98:99], s[10:11], v[144:145]
	v_fma_f64 v[34:35], v[196:197], s[14:15], v[34:35]
	v_fma_f64 v[90:91], v[90:91], s[10:11], -v[152:153]
	v_mul_f64_e32 v[94:95], s[0:1], v[94:95]
	v_fma_f64 v[80:81], v[80:81], s[6:7], -v[170:171]
	v_add_f64_e32 v[132:133], v[4:5], v[16:17]
	v_fma_f64 v[134:135], v[112:113], s[12:13], v[134:135]
	v_add_f64_e32 v[152:153], v[0:1], v[8:9]
	v_fma_f64 v[104:105], v[194:195], s[12:13], v[148:149]
	v_fma_f64 v[144:145], v[20:21], s[12:13], v[32:33]
	;; [unrolled: 1-line block ×5, first 2 shown]
	v_fma_f64 v[130:131], v[140:141], s[10:11], -v[130:131]
	v_fma_f64 v[112:113], v[112:113], s[12:13], v[62:63]
	v_fma_f64 v[140:141], v[142:143], s[6:7], -v[154:155]
	v_fma_f64 v[142:143], v[146:147], s[14:15], v[82:83]
	v_fma_f64 v[98:99], v[98:99], s[12:13], v[138:139]
	v_fma_f64 v[96:97], v[96:97], s[0:1], -v[150:151]
	v_fma_f64 v[138:139], v[78:79], s[2:3], -v[160:161]
	v_add_f64_e32 v[146:147], v[6:7], v[18:19]
	v_fma_f64 v[108:109], v[70:71], s[12:13], v[108:109]
	v_add_f64_e32 v[154:155], v[2:3], v[10:11]
	v_add_f64_e32 v[0:1], v[12:13], v[162:163]
	v_fma_f64 v[150:151], v[70:71], s[12:13], v[164:165]
	v_add_f64_e32 v[2:3], v[212:213], v[14:15]
	v_add_f64_e64 v[10:11], v[162:163], -v[12:13]
	v_add_f64_e64 v[12:13], v[212:213], -v[14:15]
	v_add_f64_e32 v[40:41], v[68:69], v[214:215]
	v_add_f64_e64 v[70:71], v[214:215], -v[68:69]
	v_add_f64_e32 v[66:67], v[76:77], v[110:111]
	v_add_f64_e32 v[68:69], v[88:89], v[116:117]
	v_add_nc_u16 v182, v124, 0x78
	v_fma_f64 v[118:119], v[22:23], s[12:13], v[118:119]
	v_add_nc_u32_e32 v184, 0xf0, v124
	v_fma_f64 v[160:161], v[22:23], s[12:13], v[72:73]
	v_fma_f64 v[114:115], v[120:121], s[0:1], -v[114:115]
	v_fma_f64 v[120:121], v[84:85], s[2:3], -v[122:123]
	v_add_f64_e32 v[4:5], v[216:217], v[38:39]
	v_add_f64_e32 v[42:43], v[156:157], v[34:35]
	;; [unrolled: 1-line block ×3, first 2 shown]
	v_add_f64_e64 v[60:61], v[156:157], -v[34:35]
	v_fma_f64 v[156:157], v[28:29], s[14:15], v[30:31]
	v_fma_f64 v[94:95], v[36:37], s[12:13], v[94:95]
	v_add_f64_e32 v[8:9], v[74:75], v[80:81]
	v_add_f64_e64 v[14:15], v[216:217], -v[38:39]
	v_add_f64_e64 v[16:17], v[86:87], -v[90:91]
	;; [unrolled: 1-line block ×3, first 2 shown]
	v_add_f64_e32 v[20:21], v[152:153], v[132:133]
	v_add_f64_e32 v[22:23], v[134:135], v[158:159]
	;; [unrolled: 1-line block ×4, first 2 shown]
	v_add_f64_e64 v[34:35], v[132:133], -v[152:153]
	v_add_f64_e32 v[32:33], v[112:113], v[140:141]
	v_add_f64_e64 v[36:37], v[134:135], -v[158:159]
	v_add_f64_e64 v[38:39], v[144:145], -v[166:167]
	;; [unrolled: 1-line block ×5, first 2 shown]
	v_add_f64_e32 v[64:65], v[176:177], v[104:105]
	v_add_f64_e64 v[62:63], v[176:177], -v[104:105]
	v_add_f64_e64 v[74:75], v[88:89], -v[116:117]
	v_mul_u32_u24_e32 v88, 10, v124
	v_add_f64_e32 v[80:81], v[128:129], v[106:107]
	v_add_f64_e32 v[82:83], v[100:101], v[142:143]
	;; [unrolled: 1-line block ×4, first 2 shown]
	v_lshl_add_u32 v122, v88, 3, 0
	v_add_f64_e32 v[104:105], v[136:137], v[138:139]
	v_add_f64_e64 v[106:107], v[106:107], -v[128:129]
	ds_store_b128 v122, v[44:47]
	ds_store_b128 v122, v[56:59] offset:16
	ds_store_b128 v122, v[48:51] offset:32
	;; [unrolled: 1-line block ×14, first 2 shown]
	v_and_b32_e32 v24, 0xff, v124
	v_and_b32_e32 v183, 0xff, v182
	v_add_f64_e64 v[128:129], v[100:101], -v[142:143]
	v_add_f64_e64 v[130:131], v[92:93], -v[98:99]
	;; [unrolled: 1-line block ×3, first 2 shown]
	v_mul_lo_u16 v44, 0xcd, v24
	v_add_f64_e32 v[136:137], v[154:155], v[146:147]
	v_add_f64_e32 v[144:145], v[108:109], v[120:121]
	v_add_f64_e64 v[146:147], v[146:147], -v[154:155]
	v_add_f64_e64 v[132:133], v[102:103], -v[96:97]
	v_add_f64_e32 v[138:139], v[150:151], v[156:157]
	v_add_f64_e64 v[148:149], v[150:151], -v[156:157]
	v_add_f64_e64 v[150:151], v[118:119], -v[94:95]
	;; [unrolled: 1-line block ×4, first 2 shown]
	v_add_f64_e32 v[140:141], v[118:119], v[94:95]
	v_add_f64_e32 v[142:143], v[160:161], v[114:115]
	v_mad_i32_i24 v125, 0xffffffb8, v124, v122
	v_lshrrev_b16 v191, 11, v44
	v_mul_lo_u16 v44, 0xcd, v183
	global_wb scope:SCOPE_SE
	s_wait_dscnt 0x0
	s_barrier_signal -1
	v_add_nc_u32_e32 v100, 0x3400, v125
	v_add_nc_u32_e32 v120, 0xc00, v125
	;; [unrolled: 1-line block ×3, first 2 shown]
	v_mul_lo_u16 v45, v191, 10
	v_lshrrev_b16 v190, 11, v44
	v_add_nc_u32_e32 v180, 0x400, v125
	v_add_nc_u32_e32 v119, 0x4000, v125
	;; [unrolled: 1-line block ×11, first 2 shown]
	s_barrier_wait -1
	global_inv scope:SCOPE_SE
	ds_load_2addr_b64 v[4:7], v125 offset1:120
	ds_load_2addr_b64 v[0:3], v180 offset0:112 offset1:232
	ds_load_2addr_b64 v[96:99], v109 offset0:80 offset1:200
	;; [unrolled: 1-line block ×14, first 2 shown]
	global_wb scope:SCOPE_SE
	s_wait_dscnt 0x0
	s_barrier_signal -1
	s_barrier_wait -1
	global_inv scope:SCOPE_SE
	ds_store_b128 v122, v[40:43]
	ds_store_b128 v122, v[64:67] offset:16
	ds_store_b128 v122, v[68:71] offset:32
	;; [unrolled: 1-line block ×3, first 2 shown]
	v_sub_nc_u16 v40, v124, v45
	v_mul_lo_u16 v41, v190, 10
	ds_store_b128 v122, v[72:75] offset:64
	ds_store_b128 v122, v[80:83] offset:9600
	;; [unrolled: 1-line block ×11, first 2 shown]
	v_and_b32_e32 v189, 0xff, v40
	v_sub_nc_u16 v40, v182, v41
	global_wb scope:SCOPE_SE
	s_wait_dscnt 0x0
	s_barrier_signal -1
	s_barrier_wait -1
	global_inv scope:SCOPE_SE
	v_and_b32_e32 v188, 0xff, v40
	v_mul_u32_u24_e32 v40, 9, v189
	s_delay_alu instid0(VALU_DEP_2) | instskip(NEXT) | instid1(VALU_DEP_2)
	v_mul_u32_u24_e32 v41, 9, v188
	v_lshlrev_b32_e32 v40, 4, v40
	s_delay_alu instid0(VALU_DEP_2)
	v_lshlrev_b32_e32 v72, 4, v41
	s_clause 0x8
	global_load_b128 v[128:131], v40, s[4:5] offset:16
	global_load_b128 v[132:135], v72, s[4:5] offset:16
	global_load_b128 v[136:139], v40, s[4:5] offset:48
	global_load_b128 v[146:149], v72, s[4:5] offset:48
	global_load_b128 v[150:153], v40, s[4:5] offset:80
	global_load_b128 v[154:157], v72, s[4:5] offset:80
	global_load_b128 v[162:165], v72, s[4:5] offset:112
	global_load_b128 v[158:161], v40, s[4:5] offset:112
	global_load_b128 v[166:169], v72, s[4:5]
	v_and_b32_e32 v41, 0xffff, v184
	s_delay_alu instid0(VALU_DEP_1) | instskip(NEXT) | instid1(VALU_DEP_1)
	v_mul_u32_u24_e32 v41, 0xcccd, v41
	v_lshrrev_b32_e32 v186, 19, v41
	s_delay_alu instid0(VALU_DEP_1) | instskip(NEXT) | instid1(VALU_DEP_1)
	v_mul_lo_u16 v41, v186, 10
	v_sub_nc_u16 v41, v184, v41
	s_delay_alu instid0(VALU_DEP_1) | instskip(NEXT) | instid1(VALU_DEP_1)
	v_and_b32_e32 v185, 0xffff, v41
	v_mul_u32_u24_e32 v41, 9, v185
	s_delay_alu instid0(VALU_DEP_1)
	v_lshlrev_b32_e32 v84, 4, v41
	s_clause 0x11
	global_load_b128 v[170:173], v84, s[4:5]
	global_load_b128 v[174:177], v40, s[4:5] offset:32
	global_load_b128 v[193:196], v84, s[4:5] offset:16
	;; [unrolled: 1-line block ×7, first 2 shown]
	global_load_b128 v[60:63], v40, s[4:5]
	global_load_b128 v[68:71], v84, s[4:5] offset:48
	global_load_b128 v[52:55], v72, s[4:5] offset:64
	;; [unrolled: 1-line block ×9, first 2 shown]
	ds_load_2addr_b64 v[140:143], v109 offset0:80 offset1:200
	ds_load_2addr_b64 v[205:208], v118 offset0:32 offset1:152
	;; [unrolled: 1-line block ×3, first 2 shown]
	s_wait_loadcnt_dscnt 0x1a02
	v_mul_f64_e32 v[122:123], v[140:141], v[130:131]
	s_wait_loadcnt 0x19
	v_mul_f64_e32 v[178:179], v[142:143], v[134:135]
	v_mul_f64_e32 v[130:131], v[96:97], v[130:131]
	;; [unrolled: 1-line block ×3, first 2 shown]
	s_wait_loadcnt_dscnt 0x1801
	v_mul_f64_e32 v[213:214], v[205:206], v[138:139]
	v_mul_f64_e32 v[215:216], v[92:93], v[138:139]
	v_fma_f64 v[144:145], v[96:97], v[128:129], -v[122:123]
	v_fma_f64 v[138:139], v[98:99], v[132:133], -v[178:179]
	ds_load_2addr_b64 v[96:99], v119 offset0:112 offset1:232
	s_wait_loadcnt 0x17
	v_mul_f64_e32 v[122:123], v[207:208], v[148:149]
	v_mul_f64_e32 v[118:119], v[94:95], v[148:149]
	v_fma_f64 v[130:131], v[140:141], v[128:129], v[130:131]
	v_fma_f64 v[128:129], v[142:143], v[132:133], v[134:135]
	v_fma_f64 v[142:143], v[92:93], v[136:137], -v[213:214]
	v_fma_f64 v[134:135], v[205:206], v[136:137], v[215:216]
	s_wait_loadcnt 0x15
	v_mul_f64_e32 v[92:93], v[90:91], v[156:157]
	ds_load_2addr_b64 v[213:216], v120 offset0:96 offset1:216
	s_wait_dscnt 0x1
	v_mul_f64_e32 v[148:149], v[96:97], v[152:153]
	v_mul_f64_e32 v[152:153], v[88:89], v[152:153]
	;; [unrolled: 1-line block ×3, first 2 shown]
	s_wait_loadcnt 0x14
	v_mul_f64_e32 v[156:157], v[211:212], v[164:165]
	v_fma_f64 v[140:141], v[94:95], v[146:147], -v[122:123]
	s_wait_loadcnt 0x13
	v_mul_f64_e32 v[122:123], v[209:210], v[160:161]
	v_fma_f64 v[132:133], v[207:208], v[146:147], v[118:119]
	v_mul_f64_e32 v[118:119], v[20:21], v[160:161]
	v_mul_f64_e32 v[160:161], v[22:23], v[164:165]
	s_wait_loadcnt 0x12
	v_mul_f64_e32 v[164:165], v[114:115], v[168:169]
	ds_load_2addr_b64 v[205:208], v101 offset0:64 offset1:184
	v_fma_f64 v[120:121], v[98:99], v[154:155], v[92:93]
	v_fma_f64 v[148:149], v[88:89], v[150:151], -v[148:149]
	v_fma_f64 v[136:137], v[96:97], v[150:151], v[152:153]
	s_wait_dscnt 0x1
	v_mul_f64_e32 v[152:153], v[213:214], v[168:169]
	v_fma_f64 v[146:147], v[90:91], v[154:155], -v[178:179]
	ds_load_2addr_b64 v[96:99], v100 offset0:16 offset1:136
	ds_load_2addr_b64 v[92:95], v102 offset0:96 offset1:216
	;; [unrolled: 1-line block ×3, first 2 shown]
	s_wait_loadcnt 0x11
	v_mul_f64_e32 v[168:169], v[215:216], v[172:173]
	v_mul_f64_e32 v[172:173], v[116:117], v[172:173]
	v_fma_f64 v[150:151], v[22:23], v[162:163], -v[156:157]
	s_wait_loadcnt 0x10
	v_mul_f64_e32 v[156:157], v[112:113], v[176:177]
	ds_load_2addr_b64 v[100:103], v108 offset0:48 offset1:168
	s_wait_loadcnt 0xd
	v_mul_f64_e32 v[178:179], v[14:15], v[106:107]
	v_fma_f64 v[154:155], v[20:21], v[158:159], -v[122:123]
	ds_load_2addr_b64 v[20:23], v180 offset0:112 offset1:232
	v_fma_f64 v[122:123], v[209:210], v[158:159], v[118:119]
	s_wait_dscnt 0x5
	v_mul_f64_e32 v[209:210], v[207:208], v[176:177]
	v_mul_f64_e32 v[176:177], v[205:206], v[195:196]
	v_fma_f64 v[118:119], v[211:212], v[162:163], v[160:161]
	v_mul_f64_e32 v[162:163], v[110:111], v[195:196]
	s_wait_dscnt 0x4
	v_mul_f64_e32 v[195:196], v[98:99], v[199:200]
	s_wait_dscnt 0x3
	v_mul_f64_e32 v[211:212], v[94:95], v[106:107]
	v_mul_f64_e32 v[199:200], v[18:19], v[199:200]
	ds_load_2addr_b64 v[106:109], v181 offset0:128 offset1:248
	v_fma_f64 v[158:159], v[114:115], v[166:167], -v[152:153]
	v_fma_f64 v[152:153], v[213:214], v[166:167], v[164:165]
	s_wait_loadcnt_dscnt 0xc03
	v_mul_f64_e32 v[213:214], v[90:91], v[203:204]
	v_mul_f64_e32 v[203:204], v[10:11], v[203:204]
	v_fma_f64 v[116:117], v[116:117], v[170:171], -v[168:169]
	v_fma_f64 v[114:115], v[215:216], v[170:171], v[172:173]
	s_wait_loadcnt_dscnt 0xb02
	v_mul_f64_e32 v[164:165], v[100:101], v[66:67]
	v_mul_f64_e32 v[166:167], v[36:37], v[66:67]
	v_fma_f64 v[156:157], v[207:208], v[174:175], v[156:157]
	s_wait_loadcnt 0xa
	v_mul_f64_e32 v[170:171], v[102:103], v[58:59]
	v_mul_f64_e32 v[168:169], v[38:39], v[58:59]
	s_wait_loadcnt 0x8
	v_mul_f64_e32 v[172:173], v[16:17], v[70:71]
	v_fma_f64 v[160:161], v[112:113], v[174:175], -v[209:210]
	v_fma_f64 v[66:67], v[110:111], v[193:194], -v[176:177]
	s_wait_dscnt 0x1
	v_mul_f64_e32 v[176:177], v[22:23], v[62:63]
	v_fma_f64 v[58:59], v[205:206], v[193:194], v[162:163]
	v_mul_f64_e32 v[174:175], v[96:97], v[70:71]
	v_fma_f64 v[162:163], v[18:19], v[197:198], -v[195:196]
	v_fma_f64 v[70:71], v[14:15], v[104:105], -v[211:212]
	v_fma_f64 v[14:15], v[98:99], v[197:198], v[199:200]
	ds_load_2addr_b64 v[110:113], v192 offset0:80 offset1:200
	v_mul_f64_e32 v[98:99], v[2:3], v[62:63]
	ds_load_2addr_b64 v[192:195], v187 offset0:32 offset1:152
	v_fma_f64 v[62:63], v[94:95], v[104:105], v[178:179]
	s_wait_loadcnt 0x7
	v_mul_f64_e32 v[94:95], v[32:33], v[54:55]
	s_wait_loadcnt_dscnt 0x602
	v_mul_f64_e32 v[104:105], v[108:109], v[42:43]
	v_fma_f64 v[18:19], v[10:11], v[201:202], -v[213:214]
	v_fma_f64 v[10:11], v[90:91], v[201:202], v[203:204]
	v_mul_f64_e32 v[90:91], v[106:107], v[54:55]
	v_and_b32_e32 v54, 0xffff, v191
	v_and_b32_e32 v55, 0xffff, v190
	v_fma_f64 v[164:165], v[36:37], v[64:65], -v[164:165]
	s_delay_alu instid0(VALU_DEP_3) | instskip(NEXT) | instid1(VALU_DEP_3)
	v_mul_u32_u24_e32 v187, 0x320, v54
	v_mul_u32_u24_e32 v190, 0x320, v55
	v_fma_f64 v[54:55], v[100:101], v[64:65], v[166:167]
	v_mul_f64_e32 v[64:65], v[34:35], v[42:43]
	s_wait_loadcnt 0x5
	v_mul_f64_e32 v[100:101], v[92:93], v[46:47]
	v_fma_f64 v[166:167], v[38:39], v[56:57], -v[170:171]
	v_mul_f64_e32 v[170:171], v[12:13], v[46:47]
	s_wait_loadcnt_dscnt 0x401
	v_mul_f64_e32 v[178:179], v[110:111], v[50:51]
	v_fma_f64 v[42:43], v[102:103], v[56:57], v[168:169]
	s_wait_loadcnt_dscnt 0x300
	v_mul_f64_e32 v[56:57], v[192:193], v[74:75]
	v_fma_f64 v[36:37], v[96:97], v[68:69], v[172:173]
	s_wait_loadcnt 0x2
	v_mul_f64_e32 v[168:169], v[112:113], v[82:83]
	v_mul_f64_e32 v[82:83], v[30:31], v[82:83]
	v_fma_f64 v[102:103], v[2:3], v[60:61], -v[176:177]
	v_mul_f64_e32 v[2:3], v[28:29], v[50:51]
	v_fma_f64 v[46:47], v[16:17], v[68:69], -v[174:175]
	s_wait_loadcnt 0x1
	v_mul_f64_e32 v[174:175], v[88:89], v[78:79]
	v_add_f64_e32 v[68:69], v[162:163], v[70:71]
	v_mul_f64_e32 v[78:79], v[8:9], v[78:79]
	v_mul_f64_e32 v[74:75], v[24:25], v[74:75]
	v_fma_f64 v[60:61], v[22:23], v[60:61], v[98:99]
	s_wait_loadcnt 0x0
	v_mul_f64_e32 v[172:173], v[194:195], v[86:87]
	v_mul_f64_e32 v[86:87], v[26:27], v[86:87]
	v_fma_f64 v[38:39], v[106:107], v[52:53], v[94:95]
	v_add_f64_e32 v[94:95], v[144:145], v[154:155]
	v_add_f64_e32 v[106:107], v[142:143], v[148:149]
	v_lshlrev_b32_e32 v16, 3, v189
	v_lshlrev_b32_e32 v17, 3, v188
	v_fma_f64 v[104:105], v[34:35], v[40:41], -v[104:105]
	v_add_f64_e32 v[176:177], v[6:7], v[138:139]
	v_add_f64_e32 v[96:97], v[160:161], v[18:19]
	;; [unrolled: 1-line block ×3, first 2 shown]
	v_fma_f64 v[90:91], v[32:33], v[52:53], -v[90:91]
	v_add_f64_e32 v[52:53], v[14:15], v[62:63]
	v_add3_u32 v51, 0, v187, v16
	v_add3_u32 v50, 0, v190, v17
	v_add_f64_e64 v[187:188], v[150:151], -v[146:147]
	v_fma_f64 v[32:33], v[108:109], v[40:41], v[64:65]
	v_fma_f64 v[34:35], v[12:13], v[44:45], -v[100:101]
	v_add_f64_e64 v[64:65], v[156:157], -v[10:11]
	v_fma_f64 v[16:17], v[92:93], v[44:45], v[170:171]
	v_fma_f64 v[40:41], v[28:29], v[48:49], -v[178:179]
	v_add_f64_e64 v[100:101], v[162:163], -v[160:161]
	v_fma_f64 v[44:45], v[24:25], v[72:73], -v[56:57]
	v_add_f64_e64 v[108:109], v[62:63], -v[10:11]
	v_fma_f64 v[30:31], v[30:31], v[80:81], -v[168:169]
	v_fma_f64 v[22:23], v[112:113], v[80:81], v[82:83]
	v_add_f64_e32 v[56:57], v[102:103], v[160:161]
	v_fma_f64 v[24:25], v[110:111], v[48:49], v[2:3]
	v_add_f64_e32 v[48:49], v[158:159], v[164:165]
	v_fma_f64 v[28:29], v[8:9], v[76:77], -v[174:175]
	v_fma_f64 v[68:69], v[68:69], -0.5, v[102:103]
	v_fma_f64 v[2:3], v[88:89], v[76:77], v[78:79]
	v_add_f64_e64 v[76:77], v[14:15], -v[62:63]
	v_fma_f64 v[12:13], v[192:193], v[72:73], v[74:75]
	v_add_f64_e64 v[72:73], v[162:163], -v[70:71]
	v_fma_f64 v[26:27], v[26:27], v[84:85], -v[172:173]
	v_fma_f64 v[8:9], v[194:195], v[84:85], v[86:87]
	v_add_f64_e64 v[80:81], v[160:161], -v[18:19]
	v_add_f64_e64 v[84:85], v[156:157], -v[14:15]
	;; [unrolled: 1-line block ×3, first 2 shown]
	v_fma_f64 v[92:93], v[94:95], -0.5, v[4:5]
	v_add_f64_e64 v[94:95], v[10:11], -v[62:63]
	v_add_f64_e32 v[82:83], v[140:141], v[146:147]
	v_fma_f64 v[78:79], v[96:97], -0.5, v[102:103]
	v_fma_f64 v[74:75], v[98:99], -0.5, v[60:61]
	v_add_f64_e64 v[96:97], v[130:131], -v[122:123]
	v_fma_f64 v[52:53], v[52:53], -0.5, v[60:61]
	v_fma_f64 v[98:99], v[106:107], -0.5, v[4:5]
	v_add_f64_e32 v[86:87], v[138:139], v[150:151]
	v_add_f64_e64 v[102:103], v[70:71], -v[18:19]
	v_add_f64_e64 v[106:107], v[14:15], -v[156:157]
	;; [unrolled: 1-line block ×6, first 2 shown]
	v_add_f64_e32 v[174:175], v[4:5], v[144:145]
	v_add_f64_e64 v[170:171], v[142:143], -v[144:145]
	v_add_f64_e64 v[172:173], v[148:149], -v[154:155]
	;; [unrolled: 1-line block ×4, first 2 shown]
	v_add_f64_e32 v[4:5], v[164:165], v[44:45]
	v_add_f64_e64 v[193:194], v[44:45], -v[40:41]
	v_add_f64_e64 v[197:198], v[54:55], -v[38:39]
	v_add_f64_e32 v[60:61], v[60:61], v[156:157]
	v_add_f64_e32 v[56:57], v[56:57], v[162:163]
	v_add_f64_e32 v[162:163], v[90:91], v[40:41]
	v_add_f64_e32 v[48:49], v[48:49], v[90:91]
	v_add_f64_e64 v[209:210], v[34:35], -v[28:29]
	v_fma_f64 v[191:192], v[64:65], s[0:1], v[68:69]
	v_fma_f64 v[68:69], v[64:65], s[10:11], v[68:69]
	v_add_f64_e32 v[176:177], v[176:177], v[140:141]
	v_add_f64_e32 v[203:204], v[54:55], v[12:13]
	v_add_f64_e64 v[201:202], v[12:13], -v[24:25]
	v_add_f64_e64 v[144:145], v[144:145], -v[154:155]
	v_fma_f64 v[207:208], v[88:89], s[0:1], v[92:93]
	v_fma_f64 v[92:93], v[88:89], s[10:11], v[92:93]
	v_add_f64_e32 v[84:85], v[84:85], v[94:95]
	v_fma_f64 v[195:196], v[76:77], s[10:11], v[78:79]
	v_fma_f64 v[78:79], v[76:77], s[0:1], v[78:79]
	;; [unrolled: 1-line block ×8, first 2 shown]
	v_fma_f64 v[82:83], v[82:83], -0.5, v[6:7]
	v_fma_f64 v[86:87], v[86:87], -0.5, v[6:7]
	v_add_f64_e64 v[6:7], v[140:141], -v[138:139]
	v_add_f64_e32 v[100:101], v[100:101], v[102:103]
	v_add_f64_e64 v[102:103], v[146:147], -v[150:151]
	v_add_f64_e32 v[106:107], v[106:107], v[108:109]
	;; [unrolled: 2-line block ×4, first 2 shown]
	v_add_f64_e64 v[168:169], v[40:41], -v[44:45]
	v_fma_f64 v[4:5], v[4:5], -0.5, v[158:159]
	v_add_f64_e64 v[90:91], v[90:91], -v[40:41]
	v_add_f64_e32 v[170:171], v[170:171], v[172:173]
	v_add_f64_e64 v[172:173], v[38:39], -v[54:55]
	v_add_f64_e32 v[40:41], v[48:49], v[40:41]
	v_add_f64_e32 v[56:57], v[56:57], v[70:71]
	v_fma_f64 v[191:192], v[76:77], s[2:3], v[191:192]
	v_fma_f64 v[68:69], v[76:77], s[6:7], v[68:69]
	v_add_f64_e64 v[70:71], v[24:25], -v[12:13]
	v_add_f64_e32 v[48:49], v[38:39], v[24:25]
	v_add_f64_e64 v[76:77], v[132:133], -v[120:121]
	v_add_f64_e64 v[164:165], v[164:165], -v[44:45]
	v_fma_f64 v[158:159], v[162:163], -0.5, v[158:159]
	v_add_f64_e32 v[178:179], v[178:179], v[187:188]
	v_add_f64_e64 v[187:188], v[166:167], -v[104:105]
	v_add_f64_e32 v[189:190], v[189:190], v[193:194]
	v_fma_f64 v[207:208], v[96:97], s[6:7], v[207:208]
	v_fma_f64 v[92:93], v[96:97], s[2:3], v[92:93]
	v_add_f64_e64 v[96:97], v[66:67], -v[46:47]
	v_fma_f64 v[195:196], v[64:65], s[2:3], v[195:196]
	v_fma_f64 v[64:65], v[64:65], s[6:7], v[78:79]
	;; [unrolled: 1-line block ×6, first 2 shown]
	v_fma_f64 v[72:73], v[203:204], -0.5, v[152:153]
	v_add_f64_e32 v[203:204], v[66:67], v[28:29]
	v_fma_f64 v[94:95], v[88:89], s[6:7], v[94:95]
	v_fma_f64 v[88:89], v[88:89], s[2:3], v[98:99]
	v_add_f64_e64 v[78:79], v[54:55], -v[12:13]
	v_add_f64_e64 v[98:99], v[28:29], -v[34:35]
	;; [unrolled: 1-line block ×3, first 2 shown]
	v_add_f64_e32 v[197:198], v[197:198], v[201:202]
	v_add_f64_e64 v[201:202], v[46:47], -v[66:67]
	v_add_f64_e32 v[102:103], v[6:7], v[102:103]
	v_add_f64_e64 v[80:81], v[128:129], -v[118:119]
	v_add_f64_e32 v[162:163], v[46:47], v[34:35]
	v_add_f64_e32 v[108:109], v[108:109], v[168:169]
	v_fma_f64 v[168:169], v[112:113], s[0:1], v[4:5]
	v_fma_f64 v[211:212], v[112:113], s[10:11], v[4:5]
	v_add_f64_e32 v[174:175], v[174:175], v[142:143]
	v_add_f64_e32 v[176:177], v[176:177], v[146:147]
	;; [unrolled: 1-line block ×4, first 2 shown]
	v_fma_f64 v[4:5], v[110:111], s[12:13], v[191:192]
	v_fma_f64 v[110:111], v[110:111], s[12:13], v[68:69]
	v_add_f64_e32 v[68:69], v[116:117], v[166:167]
	v_add_f64_e32 v[70:71], v[172:173], v[70:71]
	v_add_f64_e64 v[172:173], v[104:105], -v[166:167]
	v_add_f64_e32 v[18:19], v[56:57], v[18:19]
	v_add_f64_e64 v[56:57], v[30:31], -v[26:27]
	v_fma_f64 v[48:49], v[48:49], -0.5, v[152:153]
	v_add_f64_e64 v[166:167], v[166:167], -v[26:27]
	v_add_f64_e32 v[14:15], v[60:61], v[14:15]
	v_add_f64_e32 v[54:55], v[152:153], v[54:55]
	v_fma_f64 v[92:93], v[170:171], s[12:13], v[92:93]
	v_add_f64_e64 v[152:153], v[118:119], -v[120:121]
	v_fma_f64 v[6:7], v[100:101], s[12:13], v[195:196]
	v_fma_f64 v[64:65], v[100:101], s[12:13], v[64:65]
	v_add_f64_e32 v[100:101], v[42:43], v[8:9]
	v_fma_f64 v[191:192], v[106:107], s[12:13], v[199:200]
	v_fma_f64 v[74:75], v[106:107], s[12:13], v[74:75]
	;; [unrolled: 1-line block ×9, first 2 shown]
	v_add_f64_e64 v[170:171], v[36:37], -v[16:17]
	v_fma_f64 v[203:204], v[203:204], -0.5, v[0:1]
	v_fma_f64 v[94:95], v[160:161], s[12:13], v[94:95]
	v_fma_f64 v[88:89], v[160:161], s[12:13], v[88:89]
	v_add_f64_e32 v[160:161], v[104:105], v[30:31]
	v_fma_f64 v[205:206], v[78:79], s[10:11], v[158:159]
	v_add_f64_e32 v[96:97], v[96:97], v[98:99]
	v_fma_f64 v[168:169], v[78:79], s[6:7], v[168:169]
	v_fma_f64 v[207:208], v[78:79], s[2:3], v[211:212]
	v_add_f64_e32 v[98:99], v[187:188], v[193:194]
	v_add_f64_e32 v[156:157], v[201:202], v[209:210]
	v_add_f64_e64 v[187:188], v[32:33], -v[42:43]
	v_add_f64_e64 v[193:194], v[22:23], -v[8:9]
	v_fma_f64 v[44:45], v[44:45], -0.5, v[116:117]
	v_add_f64_e64 v[201:202], v[32:33], -v[22:23]
	v_fma_f64 v[78:79], v[78:79], s[0:1], v[158:159]
	v_add_f64_e32 v[68:69], v[68:69], v[104:105]
	v_add_f64_e32 v[158:159], v[32:33], v[22:23]
	v_add_f64_e64 v[104:105], v[104:105], -v[30:31]
	v_fma_f64 v[162:163], v[162:163], -0.5, v[0:1]
	v_fma_f64 v[209:210], v[80:81], s[10:11], v[82:83]
	v_add_f64_e32 v[56:57], v[172:173], v[56:57]
	v_add_f64_e32 v[174:175], v[174:175], v[148:149]
	v_add_f64_e32 v[0:1], v[0:1], v[66:67]
	v_add_f64_e32 v[176:177], v[176:177], v[150:151]
	v_add_f64_e32 v[14:15], v[14:15], v[62:63]
	v_mul_f64_e32 v[62:63], s[2:3], v[110:111]
	v_add_f64_e32 v[38:39], v[54:55], v[38:39]
	v_fma_f64 v[100:101], v[100:101], -0.5, v[114:115]
	v_add_f64_e64 v[54:55], v[2:3], -v[16:17]
	v_fma_f64 v[106:107], v[80:81], s[6:7], v[106:107]
	v_fma_f64 v[86:87], v[80:81], s[2:3], v[86:87]
	v_fma_f64 v[80:81], v[80:81], s[0:1], v[82:83]
	v_fma_f64 v[82:83], v[164:165], s[0:1], v[48:49]
	v_fma_f64 v[84:85], v[164:165], s[2:3], v[84:85]
	v_fma_f64 v[72:73], v[164:165], s[6:7], v[72:73]
	v_fma_f64 v[48:49], v[164:165], s[10:11], v[48:49]
	v_add_f64_e64 v[164:165], v[58:59], -v[2:3]
	v_fma_f64 v[172:173], v[170:171], s[0:1], v[203:204]
	v_fma_f64 v[116:117], v[160:161], -0.5, v[116:117]
	v_fma_f64 v[160:161], v[170:171], s[10:11], v[203:204]
	v_add_f64_e64 v[203:204], v[42:43], -v[8:9]
	v_fma_f64 v[205:206], v[112:113], s[6:7], v[205:206]
	v_fma_f64 v[207:208], v[108:109], s[12:13], v[207:208]
	v_fma_f64 v[108:109], v[108:109], s[12:13], v[168:169]
	v_add_f64_e32 v[187:188], v[187:188], v[193:194]
	v_fma_f64 v[193:194], v[201:202], s[0:1], v[44:45]
	v_fma_f64 v[44:45], v[201:202], s[10:11], v[44:45]
	v_add_f64_e32 v[30:31], v[68:69], v[30:31]
	v_fma_f64 v[158:159], v[158:159], -0.5, v[114:115]
	v_fma_f64 v[78:79], v[112:113], s[2:3], v[78:79]
	v_fma_f64 v[209:210], v[76:77], s[6:7], v[209:210]
	v_add_f64_e32 v[174:175], v[174:175], v[154:155]
	v_add_f64_e32 v[0:1], v[0:1], v[46:47]
	;; [unrolled: 1-line block ×5, first 2 shown]
	v_fma_f64 v[68:69], v[104:105], s[10:11], v[100:101]
	v_fma_f64 v[100:101], v[104:105], s[0:1], v[100:101]
	;; [unrolled: 1-line block ×12, first 2 shown]
	v_add_f64_e64 v[162:163], v[42:43], -v[32:33]
	v_add_f64_e64 v[172:173], v[8:9], -v[22:23]
	v_fma_f64 v[160:161], v[164:165], s[2:3], v[160:161]
	v_fma_f64 v[164:165], v[203:204], s[10:11], v[116:117]
	;; [unrolled: 1-line block ×5, first 2 shown]
	v_add_f64_e32 v[26:27], v[30:31], v[26:27]
	v_fma_f64 v[203:204], v[166:167], s[0:1], v[158:159]
	v_fma_f64 v[158:159], v[166:167], s[10:11], v[158:159]
	;; [unrolled: 1-line block ×4, first 2 shown]
	v_mul_f64_e32 v[205:206], s[12:13], v[207:208]
	v_fma_f64 v[102:103], v[178:179], s[12:13], v[209:210]
	v_add_f64_e32 v[0:1], v[0:1], v[34:35]
	v_add_f64_e32 v[30:31], v[132:133], v[120:121]
	;; [unrolled: 1-line block ×3, first 2 shown]
	v_fma_f64 v[68:69], v[166:167], s[2:3], v[68:69]
	v_fma_f64 v[100:101], v[166:167], s[6:7], v[100:101]
	v_mul_f64_e32 v[166:167], s[6:7], v[195:196]
	v_fma_f64 v[76:77], v[178:179], s[12:13], v[76:77]
	v_fma_f64 v[82:83], v[197:198], s[12:13], v[82:83]
	;; [unrolled: 1-line block ×5, first 2 shown]
	v_mul_f64_e32 v[170:171], s[14:15], v[4:5]
	v_fma_f64 v[112:113], v[156:157], s[12:13], v[112:113]
	v_add_f64_e32 v[162:163], v[162:163], v[172:173]
	v_mul_f64_e32 v[172:173], s[10:11], v[191:192]
	v_fma_f64 v[164:165], v[201:202], s[6:7], v[164:165]
	v_fma_f64 v[116:117], v[201:202], s[2:3], v[116:117]
	v_mul_f64_e32 v[201:202], s[12:13], v[6:7]
	v_fma_f64 v[156:157], v[156:157], s[12:13], v[160:161]
	v_add_f64_e32 v[160:161], v[128:129], v[118:119]
	v_fma_f64 v[44:45], v[56:57], s[12:13], v[44:45]
	v_fma_f64 v[56:57], v[56:57], s[12:13], v[193:194]
	;; [unrolled: 1-line block ×4, first 2 shown]
	v_mul_f64_e32 v[197:198], s[14:15], v[78:79]
	v_add_f64_e32 v[158:159], v[174:175], v[18:19]
	v_add_f64_e64 v[18:19], v[174:175], -v[18:19]
	v_fma_f64 v[205:206], v[72:73], s[10:11], -v[205:206]
	v_add_f64_e32 v[0:1], v[0:1], v[28:29]
	v_add_f64_e64 v[28:29], v[66:67], -v[28:29]
	v_add_f64_e32 v[66:67], v[20:21], v[58:59]
	v_mul_f64_e32 v[72:73], s[12:13], v[72:73]
	v_mul_f64_e32 v[38:39], s[2:3], v[189:190]
	v_fma_f64 v[211:212], v[187:188], s[12:13], v[68:69]
	v_fma_f64 v[100:101], v[187:188], s[12:13], v[100:101]
	;; [unrolled: 1-line block ×3, first 2 shown]
	v_add_f64_e64 v[110:111], v[134:135], -v[130:131]
	v_mul_f64_e32 v[70:71], s[6:7], v[82:83]
	v_fma_f64 v[80:81], v[96:97], s[12:13], v[80:81]
	v_fma_f64 v[90:91], v[96:97], s[12:13], v[90:91]
	v_fma_f64 v[170:171], v[52:53], s[6:7], -v[170:171]
	v_mul_f64_e32 v[52:53], s[14:15], v[52:53]
	v_fma_f64 v[168:169], v[64:65], s[12:13], v[172:173]
	v_fma_f64 v[116:117], v[98:99], s[12:13], v[116:117]
	v_fma_f64 v[172:173], v[74:75], s[10:11], -v[201:202]
	v_mul_f64_e32 v[201:202], s[10:11], v[84:85]
	v_fma_f64 v[98:99], v[98:99], s[12:13], v[164:165]
	v_fma_f64 v[203:204], v[162:163], s[12:13], v[203:204]
	;; [unrolled: 1-line block ×3, first 2 shown]
	v_fma_f64 v[197:198], v[48:49], s[6:7], -v[197:198]
	v_mul_f64_e32 v[162:163], s[12:13], v[44:45]
	v_mul_f64_e32 v[48:49], s[14:15], v[48:49]
	v_add_f64_e32 v[66:67], v[66:67], v[36:37]
	v_fma_f64 v[72:73], v[207:208], s[0:1], -v[72:73]
	v_fma_f64 v[38:39], v[82:83], s[14:15], v[38:39]
	v_mul_f64_e32 v[164:165], s[10:11], v[211:212]
	v_add_f64_e32 v[174:175], v[94:95], v[166:167]
	v_add_f64_e64 v[94:95], v[94:95], -v[166:167]
	v_fma_f64 v[209:210], v[189:190], s[14:15], v[70:71]
	ds_load_2addr_b64 v[68:71], v125 offset1:120
	global_wb scope:SCOPE_SE
	s_wait_dscnt 0x0
	s_barrier_signal -1
	s_barrier_wait -1
	global_inv scope:SCOPE_SE
	v_add_f64_e32 v[213:214], v[88:89], v[170:171]
	v_add_f64_e64 v[88:89], v[88:89], -v[170:171]
	v_add_f64_e32 v[170:171], v[176:177], v[40:41]
	v_add_f64_e32 v[178:179], v[199:200], v[168:169]
	v_add_f64_e64 v[168:169], v[199:200], -v[168:169]
	v_mul_f64_e32 v[166:167], s[14:15], v[116:117]
	v_add_f64_e32 v[193:194], v[92:93], v[172:173]
	v_fma_f64 v[201:202], v[108:109], s[12:13], v[201:202]
	v_add_f64_e64 v[92:93], v[92:93], -v[172:173]
	v_add_f64_e64 v[40:41], v[176:177], -v[40:41]
	v_fma_f64 v[4:5], v[4:5], s[2:3], -v[52:53]
	v_add_f64_e32 v[172:173], v[68:69], v[130:131]
	v_fma_f64 v[30:31], v[30:31], -0.5, v[70:71]
	v_add_f64_e32 v[176:177], v[76:77], v[197:198]
	v_fma_f64 v[162:163], v[100:101], s[10:11], -v[162:163]
	v_add_f64_e64 v[76:77], v[76:77], -v[197:198]
	v_fma_f64 v[48:49], v[78:79], s[2:3], -v[48:49]
	ds_store_2addr_b64 v51, v[158:159], v[174:175] offset1:10
	v_mul_f64_e32 v[158:159], s[6:7], v[203:204]
	v_add_f64_e32 v[174:175], v[134:135], v[136:137]
	ds_store_2addr_b64 v51, v[213:214], v[18:19] offset0:40 offset1:50
	v_add_f64_e32 v[18:19], v[86:87], v[205:206]
	v_add_f64_e64 v[86:87], v[86:87], -v[205:206]
	ds_store_2addr_b64 v51, v[94:95], v[168:169] offset0:60 offset1:70
	v_fma_f64 v[166:167], v[104:105], s[6:7], -v[166:167]
	ds_store_2addr_b64 v51, v[178:179], v[193:194] offset0:20 offset1:30
	v_add_f64_e32 v[178:179], v[102:103], v[209:210]
	v_add_f64_e32 v[193:194], v[130:131], v[122:123]
	;; [unrolled: 1-line block ×3, first 2 shown]
	ds_store_2addr_b64 v51, v[92:93], v[88:89] offset0:80 offset1:90
	ds_store_2addr_b64 v50, v[170:171], v[178:179] offset1:10
	ds_store_2addr_b64 v50, v[187:188], v[18:19] offset0:20 offset1:30
	v_fma_f64 v[96:97], v[98:99], s[14:15], v[158:159]
	v_fma_f64 v[158:159], v[56:57], s[12:13], v[164:165]
	v_add_f64_e32 v[164:165], v[36:37], v[16:17]
	v_fma_f64 v[174:175], v[174:175], -0.5, v[68:69]
	v_add_f64_e32 v[60:61], v[172:173], v[134:135]
	v_add_f64_e64 v[18:19], v[142:143], -v[148:149]
	v_fma_f64 v[68:69], v[193:194], -0.5, v[68:69]
	ds_store_2addr_b64 v50, v[176:177], v[40:41] offset0:40 offset1:50
	v_add_f64_e64 v[40:41], v[102:103], -v[209:210]
	v_add_f64_e64 v[88:89], v[106:107], -v[201:202]
	;; [unrolled: 1-line block ×3, first 2 shown]
	v_add_f64_e32 v[94:95], v[70:71], v[128:129]
	v_fma_f64 v[70:71], v[160:161], -0.5, v[70:71]
	v_add_f64_e64 v[102:103], v[140:141], -v[146:147]
	v_add_f64_e32 v[106:107], v[0:1], v[26:27]
	v_add_f64_e64 v[0:1], v[0:1], -v[26:27]
	v_add_f64_e64 v[26:27], v[46:47], -v[34:35]
	v_add_f64_e32 v[34:35], v[114:115], v[42:43]
	v_add_f64_e32 v[42:43], v[90:91], v[166:167]
	;; [unrolled: 1-line block ×3, first 2 shown]
	v_add_f64_e64 v[148:149], v[156:157], -v[162:163]
	v_add_f64_e64 v[90:91], v[90:91], -v[166:167]
	v_mul_u32_u24_e32 v160, 0x320, v186
	v_add_f64_e64 v[150:151], v[128:129], -v[132:133]
	v_add_f64_e64 v[128:129], v[132:133], -v[128:129]
	v_add_nc_u32_e32 v171, 0x5c00, v125
	v_lshl_add_u32 v169, v124, 3, 0
	v_add_nc_u32_e32 v170, 0x1000, v125
	v_add_nc_u32_e32 v172, 0x2000, v125
	;; [unrolled: 1-line block ×7, first 2 shown]
	v_add_f64_e32 v[138:139], v[80:81], v[96:97]
	v_add_f64_e32 v[140:141], v[112:113], v[158:159]
	v_fma_f64 v[142:143], v[164:165], -0.5, v[20:21]
	v_fma_f64 v[20:21], v[154:155], -0.5, v[20:21]
	v_add_f64_e64 v[46:47], v[80:81], -v[96:97]
	v_add_f64_e64 v[80:81], v[112:113], -v[158:159]
	;; [unrolled: 1-line block ×4, first 2 shown]
	v_fma_f64 v[114:115], v[144:145], s[0:1], v[174:175]
	v_add_f64_e32 v[60:61], v[60:61], v[136:137]
	v_fma_f64 v[130:131], v[144:145], s[10:11], v[174:175]
	v_add_f64_e64 v[134:135], v[136:137], -v[122:123]
	v_fma_f64 v[136:137], v[18:19], s[10:11], v[68:69]
	v_fma_f64 v[68:69], v[18:19], s[0:1], v[68:69]
	v_lshlrev_b32_e32 v158, 3, v185
	v_fma_f64 v[154:155], v[92:93], s[0:1], v[30:31]
	v_fma_f64 v[30:31], v[92:93], s[10:11], v[30:31]
	v_add_f64_e32 v[94:95], v[94:95], v[132:133]
	v_add_f64_e64 v[132:133], v[120:121], -v[118:119]
	v_fma_f64 v[156:157], v[102:103], s[10:11], v[70:71]
	v_fma_f64 v[70:71], v[102:103], s[0:1], v[70:71]
	ds_store_2addr_b64 v50, v[40:41], v[88:89] offset0:60 offset1:70
	v_add3_u32 v160, 0, v160, v158
	v_add_f64_e64 v[40:41], v[58:59], -v[36:37]
	v_add_f64_e64 v[36:37], v[36:37], -v[58:59]
	v_add_f64_e32 v[32:33], v[34:35], v[32:33]
	ds_store_2addr_b64 v50, v[86:87], v[76:77] offset0:80 offset1:90
	ds_store_2addr_b64 v160, v[106:107], v[138:139] offset1:10
	ds_store_2addr_b64 v160, v[140:141], v[146:147] offset0:20 offset1:30
	ds_store_2addr_b64 v160, v[42:43], v[0:1] offset0:40 offset1:50
	;; [unrolled: 1-line block ×4, first 2 shown]
	v_fma_f64 v[88:89], v[28:29], s[0:1], v[142:143]
	v_fma_f64 v[58:59], v[28:29], s[10:11], v[142:143]
	v_add_f64_e64 v[142:143], v[16:17], -v[2:3]
	v_fma_f64 v[158:159], v[26:27], s[10:11], v[20:21]
	v_fma_f64 v[20:21], v[26:27], s[0:1], v[20:21]
	v_add_f64_e32 v[34:35], v[96:97], v[112:113]
	v_fma_f64 v[76:77], v[18:19], s[2:3], v[114:115]
	v_fma_f64 v[42:43], v[195:196], s[14:15], v[62:63]
	v_add_f64_e32 v[46:47], v[60:61], v[122:123]
	v_fma_f64 v[0:1], v[18:19], s[6:7], v[130:131]
	v_add_f64_e32 v[14:15], v[110:111], v[134:135]
	v_fma_f64 v[18:19], v[144:145], s[2:3], v[136:137]
	v_fma_f64 v[60:61], v[144:145], s[6:7], v[68:69]
	v_mul_f64_e32 v[62:63], s[0:1], v[64:65]
	v_mul_f64_e32 v[64:65], s[12:13], v[74:75]
	v_add_f64_e32 v[68:69], v[150:151], v[152:153]
	v_fma_f64 v[74:75], v[102:103], s[2:3], v[154:155]
	v_fma_f64 v[30:31], v[102:103], s[6:7], v[30:31]
	v_add_f64_e32 v[80:81], v[94:95], v[120:121]
	v_add_f64_e32 v[86:87], v[128:129], v[132:133]
	v_fma_f64 v[90:91], v[92:93], s[2:3], v[156:157]
	v_fma_f64 v[70:71], v[92:93], s[6:7], v[70:71]
	v_mul_f64_e32 v[92:93], s[0:1], v[108:109]
	v_add_f64_e32 v[40:41], v[40:41], v[54:55]
	v_add_f64_e32 v[16:17], v[66:67], v[16:17]
	;; [unrolled: 1-line block ×3, first 2 shown]
	v_mul_f64_e32 v[32:33], s[0:1], v[56:57]
	v_mul_f64_e32 v[56:57], s[12:13], v[100:101]
	;; [unrolled: 1-line block ×3, first 2 shown]
	v_add_nc_u32_e32 v164, 0x2800, v125
	v_add_nc_u32_e32 v165, 0x4c00, v125
	global_wb scope:SCOPE_SE
	s_wait_dscnt 0x0
	s_barrier_signal -1
	s_barrier_wait -1
	global_inv scope:SCOPE_SE
	v_add_nc_u32_e32 v175, 0x3000, v125
	v_dual_mov_b32 v129, 0 :: v_dual_add_nc_u32 v174, 0x5400, v125
	v_fma_f64 v[54:55], v[26:27], s[2:3], v[88:89]
	v_fma_f64 v[26:27], v[26:27], s[6:7], v[58:59]
	v_add_f64_e32 v[36:37], v[36:37], v[142:143]
	v_fma_f64 v[58:59], v[28:29], s[2:3], v[158:159]
	v_fma_f64 v[20:21], v[28:29], s[6:7], v[20:21]
	v_mul_f64_e32 v[28:29], s[2:3], v[98:99]
	v_fma_f64 v[76:77], v[34:35], s[12:13], v[76:77]
	v_fma_f64 v[34:35], v[34:35], s[12:13], v[0:1]
	;; [unrolled: 1-line block ×5, first 2 shown]
	v_fma_f64 v[6:7], v[6:7], s[0:1], -v[64:65]
	v_fma_f64 v[64:65], v[68:69], s[12:13], v[74:75]
	v_fma_f64 v[30:31], v[68:69], s[12:13], v[30:31]
	v_add_f64_e32 v[52:53], v[80:81], v[118:119]
	v_fma_f64 v[68:69], v[86:87], s[12:13], v[90:91]
	v_fma_f64 v[70:71], v[86:87], s[12:13], v[70:71]
	;; [unrolled: 1-line block ×3, first 2 shown]
	v_add_f64_e32 v[16:17], v[16:17], v[2:3]
	v_add_f64_e32 v[8:9], v[22:23], v[8:9]
	v_fma_f64 v[32:33], v[211:212], s[12:13], v[32:33]
	v_fma_f64 v[44:45], v[44:45], s[0:1], -v[56:57]
	v_fma_f64 v[56:57], v[116:117], s[2:3], -v[66:67]
	v_cmp_gt_u32_e64 s0, 0x64, v124
	s_mov_b32 s2, 0xe8584caa
	s_mov_b32 s3, 0x3febb67a
	;; [unrolled: 1-line block ×3, first 2 shown]
	v_fma_f64 v[54:55], v[40:41], s[12:13], v[54:55]
	v_fma_f64 v[26:27], v[40:41], s[12:13], v[26:27]
	;; [unrolled: 1-line block ×5, first 2 shown]
	v_add_f64_e32 v[58:59], v[46:47], v[10:11]
	v_add_f64_e32 v[66:67], v[76:77], v[42:43]
	v_add_f64_e64 v[42:43], v[76:77], -v[42:43]
	v_add_f64_e64 v[46:47], v[46:47], -v[10:11]
	v_add_f64_e32 v[80:81], v[34:35], v[4:5]
	v_add_f64_e64 v[82:83], v[34:35], -v[4:5]
	ds_load_b64 v[130:131], v169 offset:3840
	ds_load_b64 v[132:133], v125 offset:27840
	ds_load_2addr_b64 v[0:3], v125 offset1:120
	ds_load_2addr_b64 v[108:111], v170 offset0:88 offset1:208
	ds_load_2addr_b64 v[12:15], v172 offset0:56 offset1:176
	;; [unrolled: 1-line block ×4, first 2 shown]
	v_add_f64_e32 v[76:77], v[18:19], v[62:63]
	v_add_f64_e32 v[78:79], v[60:61], v[6:7]
	v_add_f64_e64 v[62:63], v[18:19], -v[62:63]
	v_add_f64_e64 v[60:61], v[60:61], -v[6:7]
	v_add_f64_e32 v[86:87], v[64:65], v[38:39]
	v_add_f64_e32 v[84:85], v[52:53], v[24:25]
	v_add_f64_e64 v[52:53], v[52:53], -v[24:25]
	v_add_f64_e64 v[64:65], v[64:65], -v[38:39]
	v_add_f64_e32 v[90:91], v[70:71], v[72:73]
	v_add_f64_e32 v[88:89], v[68:69], v[74:75]
	v_add_f64_e64 v[68:69], v[68:69], -v[74:75]
	v_add_f64_e32 v[74:75], v[30:31], v[48:49]
	v_add_f64_e64 v[70:71], v[70:71], -v[72:73]
	;; [unrolled: 2-line block ×3, first 2 shown]
	v_add_f64_e64 v[92:93], v[16:17], -v[8:9]
	v_add_f64_e32 v[116:117], v[26:27], v[56:57]
	v_add_f64_e64 v[56:57], v[26:27], -v[56:57]
	v_add_f64_e32 v[96:97], v[40:41], v[32:33]
	v_add_f64_e64 v[40:41], v[40:41], -v[32:33]
	v_add_f64_e32 v[94:95], v[54:55], v[28:29]
	v_add_f64_e64 v[54:55], v[54:55], -v[28:29]
	v_add_f64_e32 v[98:99], v[36:37], v[44:45]
	v_add_f64_e64 v[44:45], v[36:37], -v[44:45]
	ds_load_2addr_b64 v[112:115], v171 offset0:56 offset1:176
	ds_load_2addr_b64 v[104:107], v164 offset0:40 offset1:160
	ds_load_2addr_b64 v[36:39], v165 offset0:88 offset1:208
	ds_load_2addr_b64 v[4:7], v180 offset0:112 offset1:232
	ds_load_2addr_b64 v[24:27], v166 offset0:72 offset1:192
	ds_load_2addr_b64 v[32:35], v168 offset0:120 offset1:240
	ds_load_2addr_b64 v[28:31], v167 offset0:40 offset1:160
	ds_load_2addr_b64 v[16:19], v175 offset0:24 offset1:144
	ds_load_2addr_b64 v[8:11], v174 offset0:72 offset1:192
	global_wb scope:SCOPE_SE
	s_wait_dscnt 0x0
	s_barrier_signal -1
	s_barrier_wait -1
	global_inv scope:SCOPE_SE
	ds_store_2addr_b64 v51, v[58:59], v[66:67] offset1:10
	ds_store_2addr_b64 v51, v[76:77], v[78:79] offset0:20 offset1:30
	ds_store_2addr_b64 v51, v[80:81], v[46:47] offset0:40 offset1:50
	v_add_nc_u32_e32 v46, 0xffffff9c, v124
	ds_store_2addr_b64 v51, v[42:43], v[62:63] offset0:60 offset1:70
	v_mul_lo_u16 v42, v183, 41
	ds_store_2addr_b64 v51, v[60:61], v[82:83] offset0:80 offset1:90
	ds_store_2addr_b64 v50, v[84:85], v[86:87] offset1:10
	s_wait_alu 0xf1ff
	v_cndmask_b32_e64 v179, v46, v124, s0
	v_lshrrev_b16 v177, 12, v42
	ds_store_2addr_b64 v50, v[88:89], v[90:91] offset0:20 offset1:30
	ds_store_2addr_b64 v50, v[74:75], v[52:53] offset0:40 offset1:50
	;; [unrolled: 1-line block ×4, first 2 shown]
	v_mul_i32_i24_e32 v128, 5, v179
	v_mul_lo_u16 v46, 0x64, v177
	ds_store_2addr_b64 v160, v[72:73], v[94:95] offset1:10
	ds_store_2addr_b64 v160, v[96:97], v[98:99] offset0:20 offset1:30
	ds_store_2addr_b64 v160, v[116:117], v[92:93] offset0:40 offset1:50
	v_lshlrev_b64_e32 v[42:43], 4, v[128:129]
	ds_store_2addr_b64 v160, v[54:55], v[40:41] offset0:60 offset1:70
	ds_store_2addr_b64 v160, v[44:45], v[56:57] offset0:80 offset1:90
	v_sub_nc_u16 v46, v182, v46
	global_wb scope:SCOPE_SE
	s_wait_dscnt 0x0
	s_barrier_signal -1
	s_barrier_wait -1
	v_add_co_u32 v40, s0, s4, v42
	s_wait_alu 0xf1ff
	v_add_co_ci_u32_e64 v41, s0, s5, v43, s0
	v_and_b32_e32 v128, 0xff, v46
	global_inv scope:SCOPE_SE
	v_lshrrev_b16 v43, 2, v184
	global_load_b128 v[134:137], v[40:41], off offset:1440
	v_add_nc_u16 v44, v124, 0x168
	v_mul_u32_u24_e32 v42, 5, v128
	v_cmp_lt_u32_e64 s0, 0x63, v124
	v_and_b32_e32 v43, 0xffff, v43
	v_lshlrev_b32_e32 v179, 3, v179
	v_lshrrev_b16 v45, 2, v44
	v_lshlrev_b32_e32 v42, 4, v42
	s_clause 0x6
	global_load_b128 v[138:141], v42, s[4:5] offset:1440
	global_load_b128 v[144:147], v[40:41], off offset:1472
	global_load_b128 v[158:161], v42, s[4:5] offset:1472
	global_load_b128 v[195:198], v42, s[4:5] offset:1456
	global_load_b128 v[187:190], v[40:41], off offset:1504
	global_load_b128 v[191:194], v42, s[4:5] offset:1504
	global_load_b128 v[116:119], v42, s[4:5] offset:1488
	v_mul_u32_u24_e32 v43, 0x147b, v43
	v_and_b32_e32 v45, 0xffff, v45
	v_lshlrev_b32_e32 v128, 3, v128
	s_delay_alu instid0(VALU_DEP_3) | instskip(NEXT) | instid1(VALU_DEP_3)
	v_lshrrev_b32_e32 v182, 17, v43
	v_mul_u32_u24_e32 v45, 0x147b, v45
	s_delay_alu instid0(VALU_DEP_2) | instskip(NEXT) | instid1(VALU_DEP_2)
	v_mul_lo_u16 v43, 0x64, v182
	v_lshrrev_b32_e32 v185, 17, v45
	v_lshrrev_b16 v45, 2, v176
	v_mul_u32_u24_e32 v182, 0x12c0, v182
	s_delay_alu instid0(VALU_DEP_4) | instskip(NEXT) | instid1(VALU_DEP_4)
	v_sub_nc_u16 v43, v184, v43
	v_mul_lo_u16 v42, 0x64, v185
	s_delay_alu instid0(VALU_DEP_2) | instskip(NEXT) | instid1(VALU_DEP_2)
	v_and_b32_e32 v178, 0xffff, v43
	v_sub_nc_u16 v42, v44, v42
	v_and_b32_e32 v44, 0xffff, v45
	s_delay_alu instid0(VALU_DEP_3) | instskip(NEXT) | instid1(VALU_DEP_3)
	v_mul_u32_u24_e32 v43, 5, v178
	v_and_b32_e32 v186, 0xffff, v42
	s_delay_alu instid0(VALU_DEP_3) | instskip(NEXT) | instid1(VALU_DEP_3)
	v_mul_u32_u24_e32 v42, 0x147b, v44
	v_lshlrev_b32_e32 v43, 4, v43
	s_delay_alu instid0(VALU_DEP_3) | instskip(NEXT) | instid1(VALU_DEP_3)
	v_mul_u32_u24_e32 v44, 5, v186
	v_lshrrev_b32_e32 v183, 17, v42
	s_clause 0x3
	global_load_b128 v[199:202], v43, s[4:5] offset:1456
	global_load_b128 v[120:123], v43, s[4:5] offset:1488
	global_load_b128 v[52:55], v43, s[4:5] offset:1472
	global_load_b128 v[56:59], v43, s[4:5] offset:1504
	v_lshlrev_b32_e32 v42, 4, v44
	v_mul_lo_u16 v44, 0x64, v183
	global_load_b128 v[60:63], v42, s[4:5] offset:1472
	v_sub_nc_u16 v44, v176, v44
	s_clause 0x1
	global_load_b128 v[72:75], v42, s[4:5] offset:1504
	global_load_b128 v[64:67], v43, s[4:5] offset:1440
	v_and_b32_e32 v184, 0xffff, v44
	s_delay_alu instid0(VALU_DEP_1) | instskip(NEXT) | instid1(VALU_DEP_1)
	v_mul_u32_u24_e32 v44, 5, v184
	v_lshlrev_b32_e32 v44, 4, v44
	s_clause 0x9
	global_load_b128 v[96:99], v44, s[4:5] offset:1504
	global_load_b128 v[88:91], v42, s[4:5] offset:1440
	global_load_b128 v[84:87], v[40:41], off offset:1488
	global_load_b128 v[92:95], v44, s[4:5] offset:1472
	global_load_b128 v[80:83], v[40:41], off offset:1456
	global_load_b128 v[76:79], v44, s[4:5] offset:1440
	global_load_b128 v[68:71], v42, s[4:5] offset:1456
	;; [unrolled: 1-line block ×5, first 2 shown]
	ds_load_2addr_b64 v[154:157], v170 offset0:88 offset1:208
	ds_load_2addr_b64 v[203:206], v181 offset0:8 offset1:128
	s_wait_loadcnt_dscnt 0x1801
	v_mul_f64_e32 v[142:143], v[154:155], v[136:137]
	v_mul_f64_e32 v[136:137], v[108:109], v[136:137]
	s_wait_loadcnt 0x17
	v_mul_f64_e32 v[148:149], v[156:157], v[140:141]
	v_mul_f64_e32 v[140:141], v[110:111], v[140:141]
	s_wait_loadcnt_dscnt 0x1600
	v_mul_f64_e32 v[207:208], v[203:204], v[146:147]
	v_mul_f64_e32 v[146:147], v[100:101], v[146:147]
	v_fma_f64 v[152:153], v[108:109], v[134:135], -v[142:143]
	v_fma_f64 v[142:143], v[154:155], v[134:135], v[136:137]
	ds_load_2addr_b64 v[134:137], v171 offset0:56 offset1:176
	s_wait_loadcnt 0x15
	v_mul_f64_e32 v[108:109], v[205:206], v[160:161]
	v_fma_f64 v[150:151], v[110:111], v[138:139], -v[148:149]
	v_mul_f64_e32 v[110:111], v[102:103], v[160:161]
	ds_load_2addr_b64 v[160:163], v164 offset0:40 offset1:160
	v_fma_f64 v[138:139], v[156:157], v[138:139], v[140:141]
	v_fma_f64 v[156:157], v[100:101], v[144:145], -v[207:208]
	s_wait_loadcnt 0x12
	v_mul_f64_e32 v[100:101], v[114:115], v[193:194]
	v_fma_f64 v[144:145], v[203:204], v[144:145], v[146:147]
	s_wait_loadcnt 0xf
	v_mul_f64_e32 v[207:208], v[38:39], v[122:123]
	s_wait_dscnt 0x1
	v_mul_f64_e32 v[148:149], v[134:135], v[189:190]
	v_mul_f64_e32 v[209:210], v[136:137], v[193:194]
	;; [unrolled: 1-line block ×3, first 2 shown]
	s_wait_dscnt 0x0
	v_mul_f64_e32 v[193:194], v[160:161], v[197:198]
	v_fma_f64 v[154:155], v[102:103], v[158:159], -v[108:109]
	v_mul_f64_e32 v[102:103], v[104:105], v[197:198]
	v_mul_f64_e32 v[197:198], v[162:163], v[201:202]
	;; [unrolled: 1-line block ×3, first 2 shown]
	v_fma_f64 v[140:141], v[205:206], v[158:159], v[110:111]
	ds_load_2addr_b64 v[203:206], v165 offset0:88 offset1:208
	ds_load_2addr_b64 v[108:111], v168 offset0:120 offset1:240
	s_wait_loadcnt 0xd
	v_mul_f64_e32 v[158:159], v[28:29], v[58:59]
	v_fma_f64 v[136:137], v[136:137], v[191:192], v[100:101]
	v_fma_f64 v[146:147], v[112:113], v[187:188], -v[148:149]
	v_fma_f64 v[148:149], v[114:115], v[191:192], -v[209:210]
	ds_load_2addr_b64 v[112:115], v167 offset0:40 offset1:160
	v_fma_f64 v[134:135], v[134:135], v[187:188], v[189:190]
	v_mul_f64_e32 v[189:190], v[36:37], v[118:119]
	s_wait_dscnt 0x2
	v_mul_f64_e32 v[187:188], v[203:204], v[118:119]
	v_mul_f64_e32 v[191:192], v[205:206], v[122:123]
	s_wait_dscnt 0x1
	v_mul_f64_e32 v[209:210], v[108:109], v[54:55]
	v_mul_f64_e32 v[122:123], v[32:33], v[54:55]
	v_fma_f64 v[118:119], v[104:105], v[195:196], -v[193:194]
	ds_load_b64 v[193:194], v125 offset:27840
	v_fma_f64 v[104:105], v[160:161], v[195:196], v[102:103]
	ds_load_2addr_b64 v[100:103], v166 offset0:72 offset1:192
	s_wait_dscnt 0x2
	v_mul_f64_e32 v[160:161], v[112:113], v[58:59]
	v_fma_f64 v[54:55], v[162:163], v[199:200], v[201:202]
	s_wait_loadcnt 0xc
	v_mul_f64_e32 v[162:163], v[110:111], v[62:63]
	v_mul_f64_e32 v[195:196], v[34:35], v[62:63]
	v_fma_f64 v[106:107], v[106:107], v[199:200], -v[197:198]
	s_wait_loadcnt_dscnt 0x901
	v_mul_f64_e32 v[201:202], v[193:194], v[98:99]
	v_mul_f64_e32 v[98:99], v[132:133], v[98:99]
	v_fma_f64 v[58:59], v[203:204], v[116:117], v[189:190]
	v_lshlrev_b32_e32 v203, 3, v178
	s_delay_alu instid0(VALU_DEP_1)
	v_add3_u32 v182, 0, v182, v203
	v_fma_f64 v[62:63], v[36:37], v[116:117], -v[187:188]
	v_mul_f64_e32 v[116:117], v[114:115], v[74:75]
	v_mul_f64_e32 v[74:75], v[30:31], v[74:75]
	v_fma_f64 v[38:39], v[38:39], v[120:121], -v[191:192]
	s_wait_dscnt 0x0
	v_mul_f64_e32 v[191:192], v[100:101], v[66:67]
	v_mul_f64_e32 v[66:67], v[24:25], v[66:67]
	v_fma_f64 v[197:198], v[32:33], v[52:53], -v[209:210]
	v_fma_f64 v[52:53], v[108:109], v[52:53], v[122:123]
	v_fma_f64 v[108:109], v[112:113], v[56:57], v[158:159]
	ds_load_2addr_b64 v[187:190], v173 offset0:104 offset1:224
	ds_load_b64 v[199:200], v169 offset:3840
	v_fma_f64 v[36:37], v[205:206], v[120:121], v[207:208]
	v_fma_f64 v[56:57], v[28:29], v[56:57], -v[160:161]
	ds_load_2addr_b64 v[120:123], v172 offset0:56 offset1:176
	s_wait_loadcnt 0x8
	v_mul_f64_e32 v[112:113], v[102:103], v[90:91]
	v_fma_f64 v[158:159], v[34:35], v[60:61], -v[162:163]
	v_fma_f64 v[60:61], v[110:111], v[60:61], v[195:196]
	v_mul_f64_e32 v[90:91], v[26:27], v[90:91]
	ds_load_2addr_b64 v[32:35], v174 offset0:72 offset1:192
	v_mul_u32_u24_e32 v209, 0x12c0, v185
	v_lshlrev_b32_e32 v210, 3, v186
	v_add_nc_u32_e32 v213, 0x800, v182
	s_delay_alu instid0(VALU_DEP_2)
	v_add3_u32 v209, 0, v209, v210
	v_add_nc_u32_e32 v210, 0x400, v182
	s_wait_loadcnt_dscnt 0x603
	v_mul_f64_e32 v[162:163], v[187:188], v[94:95]
	v_mul_f64_e32 v[94:95], v[20:21], v[94:95]
	;; [unrolled: 1-line block ×4, first 2 shown]
	s_wait_loadcnt_dscnt 0x501
	v_mul_f64_e32 v[110:111], v[122:123], v[82:83]
	v_mul_f64_e32 v[82:83], v[14:15], v[82:83]
	s_wait_loadcnt_dscnt 0x200
	v_mul_f64_e32 v[195:196], v[32:33], v[42:43]
	v_mul_f64_e32 v[42:43], v[8:9], v[42:43]
	v_fma_f64 v[116:117], v[30:31], v[72:73], -v[116:117]
	v_fma_f64 v[72:73], v[114:115], v[72:73], v[74:75]
	v_add_f64_e32 v[74:75], v[144:145], v[134:135]
	v_add_f64_e32 v[114:115], v[156:157], v[146:147]
	v_fma_f64 v[24:25], v[24:25], v[64:65], -v[191:192]
	v_fma_f64 v[64:65], v[100:101], v[64:65], v[66:67]
	v_add_f64_e32 v[66:67], v[140:141], v[136:137]
	v_fma_f64 v[100:101], v[132:133], v[96:97], -v[201:202]
	v_add_f64_e32 v[132:133], v[154:155], v[148:149]
	v_fma_f64 v[96:97], v[193:194], v[96:97], v[98:99]
	v_add_f64_e32 v[98:99], v[52:53], v[108:109]
	v_add_f64_e32 v[191:192], v[197:198], v[56:57]
	ds_load_2addr_b64 v[28:31], v175 offset0:24 offset1:144
	v_mul_f64_e32 v[193:194], v[120:121], v[78:79]
	v_fma_f64 v[26:27], v[26:27], v[88:89], -v[112:113]
	v_mul_f64_e32 v[78:79], v[12:13], v[78:79]
	v_fma_f64 v[88:89], v[102:103], v[88:89], v[90:91]
	v_add_f64_e64 v[90:91], v[144:145], -v[134:135]
	s_wait_alu 0xf1ff
	v_cndmask_b32_e64 v201, 0, 0x12c0, s0
	s_wait_alu 0xfffe
	s_mov_b32 s0, s2
	s_delay_alu instid0(VALU_DEP_1)
	v_add3_u32 v179, 0, v201, v179
	v_fma_f64 v[20:21], v[20:21], v[92:93], -v[162:163]
	v_fma_f64 v[92:93], v[187:188], v[92:93], v[94:95]
	v_fma_f64 v[22:23], v[22:23], v[84:85], -v[160:161]
	v_fma_f64 v[84:85], v[189:190], v[84:85], v[86:87]
	v_fma_f64 v[14:15], v[14:15], v[80:81], -v[110:111]
	s_wait_dscnt 0x0
	v_mul_f64_e32 v[112:113], v[28:29], v[70:71]
	v_mul_f64_e32 v[70:71], v[16:17], v[70:71]
	s_wait_loadcnt 0x1
	v_mul_f64_e32 v[94:95], v[30:31], v[50:51]
	v_add_f64_e64 v[86:87], v[156:157], -v[146:147]
	v_mul_f64_e32 v[50:51], v[18:19], v[50:51]
	v_add_f64_e64 v[160:161], v[154:155], -v[148:149]
	v_add_f64_e32 v[110:111], v[158:159], v[116:117]
	v_add_f64_e32 v[102:103], v[60:61], v[72:73]
	v_fma_f64 v[74:75], v[74:75], -0.5, v[142:143]
	v_fma_f64 v[114:115], v[114:115], -0.5, v[152:153]
	v_add_f64_e64 v[162:163], v[140:141], -v[136:137]
	v_add_f64_e64 v[187:188], v[197:198], -v[56:57]
	v_fma_f64 v[66:67], v[66:67], -0.5, v[138:139]
	v_add_f64_e64 v[189:190], v[52:53], -v[108:109]
	v_fma_f64 v[132:133], v[132:133], -0.5, v[150:151]
	v_fma_f64 v[80:81], v[122:123], v[80:81], v[82:83]
	v_fma_f64 v[98:99], v[98:99], -0.5, v[64:65]
	v_fma_f64 v[191:192], v[191:192], -0.5, v[24:25]
	v_and_b32_e32 v122, 0xffff, v177
	s_wait_loadcnt 0x0
	v_mul_f64_e32 v[82:83], v[34:35], v[46:47]
	v_fma_f64 v[12:13], v[12:13], v[76:77], -v[193:194]
	v_mul_f64_e32 v[46:47], v[10:11], v[46:47]
	v_fma_f64 v[76:77], v[120:121], v[76:77], v[78:79]
	v_mul_u32_u24_e32 v201, 0x12c0, v122
	v_add_f64_e64 v[120:121], v[158:159], -v[116:117]
	v_add_f64_e64 v[122:123], v[60:61], -v[72:73]
	v_add_f64_e32 v[78:79], v[118:119], v[62:63]
	v_fma_f64 v[32:33], v[32:33], v[40:41], v[42:43]
	v_add3_u32 v128, 0, v201, v128
	v_add_f64_e32 v[150:151], v[150:151], v[154:155]
	v_add_f64_e32 v[24:25], v[24:25], v[197:198]
	;; [unrolled: 1-line block ×4, first 2 shown]
	v_add_f64_e64 v[185:186], v[20:21], -v[100:101]
	v_add_f64_e64 v[203:204], v[92:93], -v[96:97]
	v_add_f64_e32 v[52:53], v[64:65], v[52:53]
	v_add_f64_e32 v[138:139], v[138:139], v[140:141]
	v_add_f64_e32 v[42:43], v[0:1], v[14:15]
	v_fma_f64 v[16:17], v[16:17], v[68:69], -v[112:113]
	v_fma_f64 v[112:113], v[8:9], v[40:41], -v[195:196]
	v_add_f64_e32 v[8:9], v[92:93], v[96:97]
	v_fma_f64 v[28:29], v[28:29], v[68:69], v[70:71]
	v_add_f64_e32 v[70:71], v[20:21], v[100:101]
	v_fma_f64 v[18:19], v[18:19], v[48:49], -v[94:95]
	v_add_f64_e32 v[68:69], v[14:15], v[22:23]
	v_add_f64_e32 v[94:95], v[106:107], v[38:39]
	v_fma_f64 v[102:103], v[102:103], -0.5, v[88:89]
	v_fma_f64 v[110:111], v[110:111], -0.5, v[26:27]
	s_wait_alu 0xfffe
	v_fma_f64 v[193:194], v[86:87], s[0:1], v[74:75]
	v_fma_f64 v[30:31], v[30:31], v[48:49], v[50:51]
	;; [unrolled: 1-line block ×9, first 2 shown]
	v_fma_f64 v[40:41], v[10:11], v[44:45], -v[82:83]
	v_add_f64_e32 v[10:11], v[152:153], v[156:157]
	v_fma_f64 v[34:35], v[34:35], v[44:45], v[46:47]
	v_add_f64_e32 v[82:83], v[2:3], v[118:119]
	v_add_f64_e64 v[44:45], v[80:81], -v[84:85]
	v_add_f64_e64 v[152:153], v[104:105], -v[58:59]
	v_fma_f64 v[132:133], v[162:163], s[2:3], v[132:133]
	v_fma_f64 v[78:79], v[78:79], -0.5, v[2:3]
	v_fma_f64 v[66:67], v[160:161], s[2:3], v[66:67]
	v_add_f64_e64 v[156:157], v[54:55], -v[36:37]
	v_fma_f64 v[189:190], v[189:190], s[2:3], v[191:192]
	v_fma_f64 v[98:99], v[187:188], s[2:3], v[98:99]
	v_add_f64_e32 v[26:27], v[26:27], v[158:159]
	v_add_f64_e64 v[14:15], v[14:15], -v[22:23]
	v_add_f64_e64 v[118:119], v[118:119], -v[62:63]
	v_add_f64_e32 v[24:25], v[24:25], v[56:57]
	v_add_f64_e32 v[140:141], v[104:105], v[58:59]
	v_add_nc_u32_e32 v207, 0x400, v179
	v_add_f64_e32 v[22:23], v[42:43], v[22:23]
	v_add_f64_e32 v[144:145], v[6:7], v[16:17]
	;; [unrolled: 1-line block ×3, first 2 shown]
	v_fma_f64 v[197:198], v[8:9], -0.5, v[76:77]
	v_add_f64_e32 v[42:43], v[150:151], v[148:149]
	v_fma_f64 v[70:71], v[70:71], -0.5, v[12:13]
	v_add_f64_e32 v[148:149], v[154:155], v[38:39]
	v_fma_f64 v[68:69], v[68:69], -0.5, v[0:1]
	v_fma_f64 v[4:5], v[94:95], -0.5, v[4:5]
	v_fma_f64 v[94:95], v[120:121], s[0:1], v[102:103]
	v_fma_f64 v[114:115], v[122:123], s[0:1], v[110:111]
	v_mul_f64_e32 v[205:206], s[2:3], v[193:194]
	v_fma_f64 v[110:111], v[122:123], s[2:3], v[110:111]
	v_mul_f64_e32 v[86:87], -0.5, v[48:49]
	v_mul_f64_e32 v[162:163], s[2:3], v[50:51]
	v_mul_f64_e32 v[160:161], -0.5, v[195:196]
	v_fma_f64 v[102:103], v[120:121], s[2:3], v[102:103]
	v_mul_f64_e32 v[191:192], s[2:3], v[177:178]
	v_mul_f64_e32 v[187:188], -0.5, v[201:202]
	v_add_f64_e32 v[12:13], v[12:13], v[20:21]
	v_add_f64_e32 v[158:159], v[18:19], v[40:41]
	;; [unrolled: 1-line block ×5, first 2 shown]
	v_add_f64_e64 v[82:83], v[28:29], -v[32:33]
	v_add_f64_e64 v[64:65], v[30:31], -v[34:35]
	;; [unrolled: 1-line block ×3, first 2 shown]
	v_add_f64_e32 v[106:107], v[54:55], v[36:37]
	v_add_f64_e64 v[16:17], v[16:17], -v[112:113]
	ds_load_2addr_b64 v[0:3], v125 offset1:120
	ds_load_2addr_b64 v[8:11], v180 offset0:112 offset1:232
	v_add_nc_u32_e32 v208, 0x800, v179
	v_add_f64_e32 v[26:27], v[26:27], v[116:117]
	v_add_f64_e32 v[116:117], v[130:131], v[18:19]
	;; [unrolled: 1-line block ×3, first 2 shown]
	v_add_nc_u32_e32 v211, 0x400, v128
	v_add_nc_u32_e32 v212, 0x800, v128
	global_wb scope:SCOPE_SE
	s_wait_dscnt 0x0
	s_barrier_signal -1
	v_add_f64_e32 v[144:145], v[144:145], v[112:113]
	v_fma_f64 v[6:7], v[46:47], -0.5, v[6:7]
	v_fma_f64 v[46:47], v[185:186], s[0:1], v[197:198]
	v_fma_f64 v[185:186], v[185:186], s[2:3], v[197:198]
	;; [unrolled: 1-line block ×3, first 2 shown]
	v_add_f64_e32 v[112:113], v[30:31], v[34:35]
	v_fma_f64 v[150:151], v[44:45], s[2:3], v[68:69]
	v_fma_f64 v[44:45], v[44:45], s[0:1], v[68:69]
	v_mul_f64_e32 v[120:121], s[2:3], v[94:95]
	v_mul_f64_e32 v[122:123], -0.5, v[114:115]
	v_fma_f64 v[154:155], v[90:91], 0.5, v[205:206]
	v_add_f64_e32 v[28:29], v[10:11], v[28:29]
	v_fma_f64 v[68:69], v[74:75], s[2:3], v[86:87]
	v_fma_f64 v[86:87], v[152:153], s[2:3], v[78:79]
	v_fma_f64 v[162:163], v[132:133], 0.5, v[162:163]
	v_fma_f64 v[78:79], v[152:153], s[0:1], v[78:79]
	v_fma_f64 v[152:153], v[66:67], s[2:3], v[160:161]
	;; [unrolled: 1-line block ×3, first 2 shown]
	v_fma_f64 v[191:192], v[189:190], 0.5, v[191:192]
	v_fma_f64 v[4:5], v[156:157], s[0:1], v[4:5]
	v_fma_f64 v[156:157], v[98:99], s[2:3], v[187:188]
	v_add_f64_e32 v[187:188], v[80:81], v[84:85]
	v_fma_f64 v[130:131], v[158:159], -0.5, v[130:131]
	v_add_f64_e32 v[158:159], v[22:23], v[146:147]
	v_add_f64_e64 v[22:23], v[22:23], -v[146:147]
	v_add_f64_e32 v[146:147], v[62:63], v[42:43]
	v_add_f64_e64 v[42:43], v[62:63], -v[42:43]
	v_fma_f64 v[62:63], v[203:204], s[2:3], v[70:71]
	v_add_f64_e32 v[203:204], v[148:149], v[24:25]
	v_add_f64_e64 v[24:25], v[148:149], -v[24:25]
	v_add_f64_e32 v[80:81], v[0:1], v[80:81]
	v_fma_f64 v[10:11], v[20:21], -0.5, v[10:11]
	v_mul_f64_e32 v[20:21], s[0:1], v[90:91]
	v_mul_f64_e32 v[74:75], -0.5, v[74:75]
	v_add_f64_e32 v[12:13], v[12:13], v[100:101]
	v_add_f64_e32 v[88:89], v[116:117], v[40:41]
	;; [unrolled: 1-line block ×4, first 2 shown]
	v_fma_f64 v[2:3], v[140:141], -0.5, v[2:3]
	v_fma_f64 v[148:149], v[82:83], s[2:3], v[6:7]
	v_mul_f64_e32 v[70:71], s[2:3], v[46:47]
	v_fma_f64 v[6:7], v[82:83], s[0:1], v[6:7]
	v_mul_f64_e32 v[197:198], -0.5, v[56:57]
	v_fma_f64 v[8:9], v[106:107], -0.5, v[8:9]
	v_mul_f64_e32 v[106:107], s[0:1], v[132:133]
	s_barrier_wait -1
	v_fma_f64 v[82:83], v[110:111], 0.5, v[120:121]
	v_fma_f64 v[120:121], v[102:103], s[2:3], v[122:123]
	v_add_f64_e32 v[122:123], v[150:151], v[154:155]
	v_add_f64_e64 v[150:151], v[150:151], -v[154:155]
	v_add_f64_e32 v[154:155], v[44:45], v[68:69]
	v_add_f64_e64 v[44:45], v[44:45], -v[68:69]
	;; [unrolled: 2-line block ×6, first 2 shown]
	v_fma_f64 v[0:1], v[187:188], -0.5, v[0:1]
	v_fma_f64 v[100:101], v[64:65], s[2:3], v[130:131]
	v_fma_f64 v[64:65], v[64:65], s[0:1], v[130:131]
	global_inv scope:SCOPE_SE
	v_add_f64_e32 v[30:31], v[199:200], v[30:31]
	v_mul_f64_e32 v[66:67], -0.5, v[66:67]
	v_mul_f64_e32 v[130:131], s[0:1], v[189:190]
	v_mul_f64_e32 v[98:99], -0.5, v[98:99]
	v_mul_f64_e32 v[110:111], s[0:1], v[110:111]
	ds_store_2addr_b64 v179, v[158:159], v[122:123] offset1:100
	ds_store_2addr_b64 v207, v[154:155], v[22:23] offset0:72 offset1:172
	ds_store_2addr_b64 v208, v[150:151], v[44:45] offset0:144 offset1:244
	ds_store_2addr_b64 v128, v[146:147], v[68:69] offset1:100
	ds_store_2addr_b64 v211, v[162:163], v[42:43] offset0:72 offset1:172
	ds_store_2addr_b64 v212, v[86:87], v[78:79] offset0:144 offset1:244
	;; [unrolled: 3-line block ×3, first 2 shown]
	v_fma_f64 v[70:71], v[62:63], 0.5, v[70:71]
	v_fma_f64 v[116:117], v[185:186], s[2:3], v[197:198]
	v_mul_f64_e32 v[4:5], -0.5, v[102:103]
	v_fma_f64 v[22:23], v[112:113], -0.5, v[199:200]
	v_add_f64_e32 v[24:25], v[76:77], v[92:93]
	v_add_f64_e64 v[18:19], v[18:19], -v[40:41]
	v_mul_f64_e32 v[40:41], s[0:1], v[62:63]
	v_mul_f64_e32 v[42:43], -0.5, v[185:186]
	v_add_f64_e32 v[90:91], v[144:145], v[26:27]
	v_add_f64_e64 v[26:27], v[144:145], -v[26:27]
	v_add_f64_e32 v[132:133], v[148:149], v[82:83]
	v_add_f64_e32 v[140:141], v[6:7], v[120:121]
	;; [unrolled: 1-line block ×4, first 2 shown]
	v_fma_f64 v[20:21], v[193:194], 0.5, v[20:21]
	v_fma_f64 v[80:81], v[14:15], s[0:1], v[0:1]
	v_add_f64_e64 v[82:83], v[148:149], -v[82:83]
	v_add_f64_e64 v[6:7], v[6:7], -v[120:121]
	v_fma_f64 v[0:1], v[14:15], s[2:3], v[0:1]
	v_fma_f64 v[14:15], v[48:49], s[0:1], v[74:75]
	v_add_f64_e32 v[44:45], v[88:89], v[12:13]
	v_add_f64_e64 v[12:13], v[88:89], -v[12:13]
	v_add_f64_e32 v[48:49], v[104:105], v[58:59]
	v_add_f64_e32 v[58:59], v[138:139], v[136:137]
	v_fma_f64 v[74:75], v[118:119], s[0:1], v[2:3]
	v_fma_f64 v[50:51], v[50:51], 0.5, v[106:107]
	v_fma_f64 v[2:3], v[118:119], s[2:3], v[2:3]
	v_fma_f64 v[66:67], v[195:196], s[0:1], v[66:67]
	v_add_f64_e32 v[36:37], v[54:55], v[36:37]
	v_add_f64_e32 v[52:53], v[52:53], v[108:109]
	v_fma_f64 v[54:55], v[38:39], s[0:1], v[8:9]
	v_fma_f64 v[84:85], v[177:178], 0.5, v[130:131]
	v_fma_f64 v[8:9], v[38:39], s[2:3], v[8:9]
	v_fma_f64 v[38:39], v[201:202], s[0:1], v[98:99]
	v_add_f64_e32 v[28:29], v[28:29], v[32:33]
	v_add_f64_e32 v[32:33], v[60:61], v[72:73]
	v_fma_f64 v[60:61], v[16:17], s[0:1], v[10:11]
	v_fma_f64 v[72:73], v[94:95], 0.5, v[110:111]
	v_add_f64_e32 v[62:63], v[100:101], v[70:71]
	v_add_f64_e32 v[68:69], v[64:65], v[116:117]
	v_add_f64_e64 v[70:71], v[100:101], -v[70:71]
	v_add_f64_e64 v[64:65], v[64:65], -v[116:117]
	v_fma_f64 v[10:11], v[16:17], s[2:3], v[10:11]
	v_fma_f64 v[4:5], v[114:115], s[0:1], v[4:5]
	v_add_f64_e32 v[16:17], v[30:31], v[34:35]
	v_add_f64_e32 v[24:25], v[24:25], v[96:97]
	v_fma_f64 v[30:31], v[18:19], s[0:1], v[22:23]
	v_fma_f64 v[34:35], v[46:47], 0.5, v[40:41]
	v_fma_f64 v[18:19], v[18:19], s[2:3], v[22:23]
	v_fma_f64 v[22:23], v[56:57], s[0:1], v[42:43]
	v_mul_u32_u24_e32 v86, 0x12c0, v183
	v_lshlrev_b32_e32 v87, 3, v184
	v_add_nc_u32_e32 v156, 0x400, v209
	v_add_nc_u32_e32 v157, 0x800, v209
	ds_store_2addr_b64 v209, v[90:91], v[132:133] offset1:100
	v_add3_u32 v120, 0, v86, v87
	s_delay_alu instid0(VALU_DEP_1)
	v_add_nc_u32_e32 v121, 0x400, v120
	v_add_nc_u32_e32 v122, 0x800, v120
	ds_store_2addr_b64 v156, v[140:141], v[26:27] offset0:72 offset1:172
	ds_store_2addr_b64 v157, v[82:83], v[6:7] offset0:144 offset1:244
	ds_store_2addr_b64 v120, v[44:45], v[62:63] offset1:100
	ds_store_2addr_b64 v121, v[68:69], v[12:13] offset0:72 offset1:172
	ds_store_2addr_b64 v122, v[70:71], v[64:65] offset0:144 offset1:244
	v_add_f64_e32 v[62:63], v[76:77], v[78:79]
	v_add_f64_e32 v[64:65], v[80:81], v[20:21]
	v_add_f64_e64 v[68:69], v[76:77], -v[78:79]
	v_add_f64_e32 v[70:71], v[0:1], v[14:15]
	v_add_f64_e64 v[76:77], v[80:81], -v[20:21]
	v_add_f64_e64 v[78:79], v[0:1], -v[14:15]
	v_add_f64_e32 v[80:81], v[48:49], v[58:59]
	v_add_f64_e32 v[86:87], v[74:75], v[50:51]
	global_wb scope:SCOPE_SE
	s_wait_dscnt 0x0
	v_add_f64_e64 v[82:83], v[48:49], -v[58:59]
	v_add_f64_e64 v[74:75], v[74:75], -v[50:51]
	v_add_f64_e32 v[88:89], v[2:3], v[66:67]
	v_add_f64_e64 v[66:67], v[2:3], -v[66:67]
	v_add_f64_e32 v[90:91], v[36:37], v[52:53]
	v_add_f64_e64 v[92:93], v[36:37], -v[52:53]
	v_add_f64_e32 v[94:95], v[54:55], v[84:85]
	v_add_f64_e64 v[84:85], v[54:55], -v[84:85]
	v_add_f64_e32 v[96:97], v[8:9], v[38:39]
	v_add_f64_e64 v[98:99], v[8:9], -v[38:39]
	v_add_f64_e32 v[100:101], v[28:29], v[32:33]
	v_add_f64_e64 v[102:103], v[28:29], -v[32:33]
	v_add_f64_e32 v[104:105], v[60:61], v[72:73]
	v_add_f64_e64 v[60:61], v[60:61], -v[72:73]
	v_add_f64_e32 v[72:73], v[10:11], v[4:5]
	v_add_f64_e64 v[106:107], v[10:11], -v[4:5]
	v_add_f64_e32 v[108:109], v[16:17], v[24:25]
	v_add_f64_e64 v[110:111], v[16:17], -v[24:25]
	v_add_f64_e32 v[112:113], v[30:31], v[34:35]
	v_add_f64_e64 v[114:115], v[30:31], -v[34:35]
	v_add_f64_e32 v[116:117], v[18:19], v[22:23]
	v_add_f64_e64 v[118:119], v[18:19], -v[22:23]
	s_barrier_signal -1
	s_barrier_wait -1
	global_inv scope:SCOPE_SE
	ds_load_b64 v[56:57], v169 offset:3840
	ds_load_b64 v[58:59], v125 offset:27840
	ds_load_2addr_b64 v[0:3], v125 offset1:120
	ds_load_2addr_b64 v[8:11], v170 offset0:88 offset1:208
	ds_load_2addr_b64 v[52:55], v172 offset0:56 offset1:176
	;; [unrolled: 1-line block ×13, first 2 shown]
	global_wb scope:SCOPE_SE
	s_wait_dscnt 0x0
	s_barrier_signal -1
	s_barrier_wait -1
	global_inv scope:SCOPE_SE
	ds_store_2addr_b64 v179, v[62:63], v[64:65] offset1:100
	ds_store_2addr_b64 v207, v[70:71], v[68:69] offset0:72 offset1:172
	ds_store_2addr_b64 v208, v[76:77], v[78:79] offset0:144 offset1:244
	ds_store_2addr_b64 v128, v[80:81], v[86:87] offset1:100
	ds_store_2addr_b64 v211, v[88:89], v[82:83] offset0:72 offset1:172
	ds_store_2addr_b64 v212, v[74:75], v[66:67] offset0:144 offset1:244
	;; [unrolled: 3-line block ×5, first 2 shown]
	global_wb scope:SCOPE_SE
	s_wait_dscnt 0x0
	s_barrier_signal -1
	s_barrier_wait -1
	global_inv scope:SCOPE_SE
	s_and_saveexec_b32 s6, vcc_lo
	s_cbranch_execz .LBB0_13
; %bb.12:
	v_mul_u32_u24_e32 v60, 5, v176
	v_mul_u32_u24_e32 v61, 5, v124
	v_mad_u32_u24 v128, v176, 5, 0xfffffda8
	s_delay_alu instid0(VALU_DEP_3) | instskip(NEXT) | instid1(VALU_DEP_3)
	v_lshlrev_b32_e32 v92, 4, v60
	v_lshlrev_b32_e32 v104, 4, v61
	s_delay_alu instid0(VALU_DEP_3)
	v_lshlrev_b64_e32 v[76:77], 4, v[128:129]
	v_mad_u32_u24 v128, v176, 5, 0xfffffb50
	s_clause 0x3
	global_load_b128 v[60:63], v92, s[4:5] offset:9440
	global_load_b128 v[64:67], v104, s[4:5] offset:9456
	;; [unrolled: 1-line block ×4, first 2 shown]
	v_add_co_u32 v116, vcc_lo, s4, v76
	s_wait_alu 0xfffd
	v_add_co_ci_u32_e32 v117, vcc_lo, s5, v77, vcc_lo
	s_clause 0x6
	global_load_b128 v[76:79], v92, s[4:5] offset:9456
	global_load_b128 v[80:83], v[116:117], off offset:9456
	global_load_b128 v[84:87], v92, s[4:5] offset:9488
	global_load_b128 v[88:91], v[116:117], off offset:9488
	global_load_b128 v[92:95], v92, s[4:5] offset:9504
	global_load_b128 v[96:99], v104, s[4:5] offset:9472
	;; [unrolled: 1-line block ×3, first 2 shown]
	v_lshlrev_b64_e32 v[120:121], 4, v[128:129]
	v_mad_u32_u24 v128, v176, 5, 0xfffff8f8
	s_clause 0x3
	global_load_b128 v[104:107], v104, s[4:5] offset:9440
	global_load_b128 v[108:111], v[116:117], off offset:9472
	global_load_b128 v[112:115], v[116:117], off offset:9440
	;; [unrolled: 1-line block ×3, first 2 shown]
	v_add_co_u32 v142, vcc_lo, s4, v120
	s_wait_alu 0xfffd
	v_add_co_ci_u32_e32 v143, vcc_lo, s5, v121, vcc_lo
	v_lshlrev_b64_e32 v[138:139], 4, v[128:129]
	v_mul_hi_u32 v128, 0x1b4e81b5, v176
	s_clause 0x2
	global_load_b128 v[120:123], v[142:143], off offset:9456
	global_load_b128 v[130:133], v[142:143], off offset:9488
	;; [unrolled: 1-line block ×3, first 2 shown]
	v_add_co_u32 v162, vcc_lo, s4, v138
	s_wait_alu 0xfffd
	v_add_co_ci_u32_e32 v163, vcc_lo, s5, v139, vcc_lo
	s_clause 0x6
	global_load_b128 v[138:141], v[142:143], off offset:9504
	global_load_b128 v[142:145], v[142:143], off offset:9440
	;; [unrolled: 1-line block ×7, first 2 shown]
	ds_load_2addr_b64 v[186:189], v172 offset0:56 offset1:176
	ds_load_2addr_b64 v[190:193], v173 offset0:104 offset1:224
	v_lshrrev_b32_e32 v128, 6, v128
	s_delay_alu instid0(VALU_DEP_1)
	v_mul_u32_u24_e32 v128, 0xbb8, v128
	s_wait_loadcnt_dscnt 0x1801
	v_mul_f64_e32 v[162:163], v[62:63], v[186:187]
	v_mul_f64_e32 v[177:178], v[60:61], v[186:187]
	s_wait_loadcnt 0x17
	v_mul_f64_e32 v[194:195], v[66:67], v[188:189]
	v_mul_f64_e32 v[196:197], v[64:65], v[188:189]
	ds_load_2addr_b64 v[186:189], v175 offset0:24 offset1:144
	s_wait_loadcnt_dscnt 0x1601
	v_mul_f64_e32 v[198:199], v[70:71], v[190:191]
	v_mul_f64_e32 v[190:191], v[68:69], v[190:191]
	ds_load_2addr_b64 v[172:175], v174 offset0:72 offset1:192
	s_wait_loadcnt 0x15
	v_mul_f64_e32 v[200:201], v[74:75], v[192:193]
	v_mul_f64_e32 v[192:193], v[72:73], v[192:193]
	s_wait_loadcnt_dscnt 0x1401
	v_mul_f64_e32 v[202:203], v[78:79], v[188:189]
	v_mul_f64_e32 v[204:205], v[76:77], v[188:189]
	s_wait_loadcnt 0x13
	v_mul_f64_e32 v[206:207], v[82:83], v[186:187]
	v_mul_f64_e32 v[208:209], v[80:81], v[186:187]
	ds_load_b64 v[210:211], v125 offset:27840
	ds_load_2addr_b64 v[186:189], v181 offset0:8 offset1:128
	s_wait_loadcnt_dscnt 0x1202
	v_mul_f64_e32 v[212:213], v[86:87], v[174:175]
	v_mul_f64_e32 v[174:175], v[84:85], v[174:175]
	s_wait_loadcnt 0x11
	v_mul_f64_e32 v[214:215], v[90:91], v[172:173]
	v_fma_f64 v[162:163], v[52:53], v[60:61], -v[162:163]
	v_fma_f64 v[177:178], v[52:53], v[62:63], v[177:178]
	ds_load_2addr_b64 v[60:63], v171 offset0:56 offset1:176
	v_mul_f64_e32 v[171:172], v[88:89], v[172:173]
	v_fma_f64 v[194:195], v[54:55], v[64:65], -v[194:195]
	v_fma_f64 v[196:197], v[54:55], v[66:67], v[196:197]
	ds_load_2addr_b64 v[52:55], v170 offset0:88 offset1:208
	ds_load_b64 v[169:170], v169 offset:3840
	v_fma_f64 v[198:199], v[48:49], v[68:69], -v[198:199]
	v_fma_f64 v[190:191], v[48:49], v[70:71], v[190:191]
	s_wait_loadcnt_dscnt 0x1004
	v_mul_f64_e32 v[216:217], v[94:95], v[210:211]
	v_mul_f64_e32 v[210:211], v[92:93], v[210:211]
	s_wait_loadcnt_dscnt 0xf03
	v_mul_f64_e32 v[218:219], v[98:99], v[186:187]
	v_mul_f64_e32 v[186:187], v[96:97], v[186:187]
	v_fma_f64 v[200:201], v[50:51], v[72:73], -v[200:201]
	v_fma_f64 v[192:193], v[50:51], v[74:75], v[192:193]
	ds_load_2addr_b64 v[48:51], v166 offset0:72 offset1:192
	ds_load_2addr_b64 v[64:67], v168 offset0:120 offset1:240
	s_wait_loadcnt_dscnt 0xe04
	v_mul_f64_e32 v[220:221], v[102:103], v[60:61]
	v_mul_f64_e32 v[60:61], v[100:101], v[60:61]
	v_fma_f64 v[76:77], v[46:47], v[76:77], -v[202:203]
	v_fma_f64 v[78:79], v[46:47], v[78:79], v[204:205]
	v_fma_f64 v[80:81], v[44:45], v[80:81], -v[206:207]
	v_fma_f64 v[82:83], v[44:45], v[82:83], v[208:209]
	ds_load_2addr_b64 v[44:47], v167 offset0:40 offset1:160
	ds_load_2addr_b64 v[68:71], v164 offset0:40 offset1:160
	;; [unrolled: 1-line block ×3, first 2 shown]
	s_wait_loadcnt_dscnt 0xd06
	v_mul_f64_e32 v[164:165], v[106:107], v[52:53]
	v_fma_f64 v[86:87], v[42:43], v[86:87], v[174:175]
	v_mul_f64_e32 v[52:53], v[104:105], v[52:53]
	s_wait_loadcnt 0x2
	v_mul_f64_e32 v[208:209], v[156:157], v[188:189]
	v_mul_f64_e32 v[188:189], v[154:155], v[188:189]
	v_fma_f64 v[84:85], v[42:43], v[84:85], -v[212:213]
	s_wait_dscnt 0x4
	v_mul_f64_e32 v[166:167], v[114:115], v[50:51]
	v_mul_f64_e32 v[50:51], v[112:113], v[50:51]
	;; [unrolled: 1-line block ×4, first 2 shown]
	s_wait_loadcnt 0x0
	v_mul_f64_e32 v[212:213], v[184:185], v[54:55]
	v_mul_f64_e32 v[54:55], v[182:183], v[54:55]
	v_fma_f64 v[90:91], v[40:41], v[90:91], v[171:172]
	s_wait_dscnt 0x3
	v_mul_f64_e32 v[171:172], v[110:111], v[66:67]
	v_mul_f64_e32 v[66:67], v[108:109], v[66:67]
	v_fma_f64 v[88:89], v[40:41], v[88:89], -v[214:215]
	v_add_co_u32 v214, vcc_lo, s8, v126
	s_wait_dscnt 0x2
	v_mul_f64_e32 v[173:174], v[118:119], v[46:47]
	v_fma_f64 v[92:93], v[58:59], v[92:93], -v[216:217]
	v_fma_f64 v[58:59], v[58:59], v[94:95], v[210:211]
	v_mul_f64_e32 v[94:95], v[116:117], v[46:47]
	s_wait_dscnt 0x1
	v_mul_f64_e32 v[175:176], v[122:123], v[70:71]
	v_fma_f64 v[96:97], v[12:13], v[96:97], -v[218:219]
	v_fma_f64 v[12:13], v[12:13], v[98:99], v[186:187]
	s_wait_dscnt 0x0
	v_mul_f64_e32 v[98:99], v[132:133], v[74:75]
	v_mul_f64_e32 v[70:71], v[120:121], v[70:71]
	;; [unrolled: 1-line block ×6, first 2 shown]
	v_fma_f64 v[100:101], v[16:17], v[100:101], -v[220:221]
	v_fma_f64 v[16:17], v[16:17], v[102:103], v[60:61]
	v_mul_f64_e32 v[60:61], v[130:131], v[74:75]
	v_mul_f64_e32 v[74:75], v[136:137], v[64:65]
	;; [unrolled: 1-line block ×5, first 2 shown]
	v_fma_f64 v[104:105], v[8:9], v[104:105], -v[164:165]
	v_mul_f64_e32 v[204:205], v[148:149], v[68:69]
	v_fma_f64 v[8:9], v[8:9], v[106:107], v[52:53]
	v_mul_f64_e32 v[68:69], v[146:147], v[68:69]
	ds_load_2addr_b64 v[44:47], v125 offset1:120
	v_mov_b32_e32 v125, v129
	v_fma_f64 v[52:53], v[30:31], v[112:113], -v[166:167]
	v_fma_f64 v[30:31], v[30:31], v[114:115], v[50:51]
	s_wait_alu 0xfffd
	v_add_co_ci_u32_e32 v215, vcc_lo, s9, v127, vcc_lo
	v_lshlrev_b64_e32 v[126:127], 4, v[128:129]
	ds_load_2addr_b64 v[40:43], v180 offset0:112 offset1:232
	v_add_f64_e32 v[114:115], v[78:79], v[169:170]
	v_fma_f64 v[106:107], v[34:35], v[108:109], -v[171:172]
	v_fma_f64 v[34:35], v[34:35], v[110:111], v[66:67]
	v_add_f64_e32 v[166:167], v[80:81], v[88:89]
	v_lshlrev_b64_e32 v[124:125], 4, v[124:125]
	v_fma_f64 v[108:109], v[38:39], v[116:117], -v[173:174]
	v_add_f64_e64 v[110:111], v[198:199], -v[92:93]
	v_add_f64_e32 v[112:113], v[190:191], v[58:59]
	v_fma_f64 v[38:39], v[38:39], v[118:119], v[94:95]
	v_fma_f64 v[50:51], v[22:23], v[120:121], -v[175:176]
	v_add_f64_e32 v[116:117], v[177:178], v[190:191]
	v_add_f64_e32 v[118:119], v[76:77], v[84:85]
	v_fma_f64 v[66:67], v[26:27], v[130:131], -v[98:99]
	v_fma_f64 v[22:23], v[22:23], v[122:123], v[70:71]
	v_add_f64_e32 v[98:99], v[198:199], v[92:93]
	v_add_f64_e32 v[120:121], v[162:163], v[198:199]
	v_add_f64_e64 v[122:123], v[194:195], -v[200:201]
	v_fma_f64 v[94:95], v[18:19], v[158:159], -v[210:211]
	v_add_f64_e32 v[130:131], v[96:97], v[100:101]
	v_add_f64_e32 v[128:129], v[12:13], v[16:17]
	v_fma_f64 v[26:27], v[26:27], v[132:133], v[60:61]
	v_fma_f64 v[70:71], v[32:33], v[134:135], -v[74:75]
	v_fma_f64 v[32:33], v[32:33], v[136:137], v[64:65]
	v_fma_f64 v[74:75], v[36:37], v[138:139], -v[102:103]
	;; [unrolled: 2-line block ×4, first 2 shown]
	v_fma_f64 v[14:15], v[14:15], v[156:157], v[188:189]
	v_fma_f64 v[18:19], v[18:19], v[160:161], v[62:63]
	v_fma_f64 v[60:61], v[28:29], v[142:143], -v[202:203]
	v_fma_f64 v[28:29], v[28:29], v[144:145], v[48:49]
	v_fma_f64 v[48:49], v[20:21], v[146:147], -v[204:205]
	;; [unrolled: 2-line block ×3, first 2 shown]
	v_fma_f64 v[10:11], v[10:11], v[184:185], v[54:55]
	v_add_f64_e64 v[54:55], v[76:77], -v[84:85]
	v_add_f64_e32 v[62:63], v[78:79], v[86:87]
	v_add_f64_e64 v[102:103], v[190:191], -v[58:59]
	v_add_f64_e32 v[76:77], v[56:57], v[76:77]
	v_add_f64_e32 v[132:133], v[196:197], v[192:193]
	v_add_f64_e64 v[134:135], v[12:13], -v[16:17]
	v_add_f64_e64 v[136:137], v[96:97], -v[100:101]
	v_add_f64_e32 v[144:145], v[106:107], v[108:109]
	v_add_f64_e32 v[12:13], v[8:9], v[12:13]
	;; [unrolled: 1-line block ×4, first 2 shown]
	v_add_f64_e64 v[150:151], v[80:81], -v[88:89]
	v_add_f64_e64 v[158:159], v[34:35], -v[38:39]
	;; [unrolled: 1-line block ×3, first 2 shown]
	v_add_f64_e32 v[34:35], v[30:31], v[34:35]
	v_add_f64_e32 v[80:81], v[6:7], v[80:81]
	;; [unrolled: 1-line block ×3, first 2 shown]
	v_add_f64_e64 v[175:176], v[50:51], -v[66:67]
	s_wait_dscnt 0x0
	v_add_f64_e32 v[185:186], v[22:23], v[40:41]
	v_add_f64_e32 v[187:188], v[50:51], v[66:67]
	v_fma_f64 v[98:99], v[98:99], -0.5, v[162:163]
	v_add_f64_e32 v[50:51], v[4:5], v[50:51]
	v_add_f64_e32 v[179:180], v[22:23], v[26:27]
	v_add_f64_e64 v[189:190], v[22:23], -v[26:27]
	v_fma_f64 v[22:23], v[112:113], -0.5, v[177:178]
	v_add_f64_e32 v[154:155], v[70:71], v[74:75]
	v_add_f64_e32 v[156:157], v[32:33], v[36:37]
	v_add_f64_e64 v[181:182], v[32:33], -v[36:37]
	v_add_f64_e64 v[183:184], v[70:71], -v[74:75]
	v_add_f64_e32 v[171:172], v[72:73], v[94:95]
	v_fma_f64 v[8:9], v[128:129], -0.5, v[8:9]
	v_add_f64_e32 v[173:174], v[14:15], v[18:19]
	v_fma_f64 v[104:105], v[130:131], -0.5, v[104:105]
	v_add_f64_e32 v[32:33], v[28:29], v[32:33]
	v_add_f64_e32 v[70:71], v[60:61], v[70:71]
	;; [unrolled: 1-line block ×5, first 2 shown]
	v_add_f64_e64 v[112:113], v[48:49], -v[64:65]
	v_add_f64_e32 v[128:129], v[20:21], v[24:25]
	v_add_f64_e64 v[130:131], v[14:15], -v[18:19]
	v_add_f64_e64 v[162:163], v[72:73], -v[94:95]
	v_add_f64_e32 v[177:178], v[20:21], v[46:47]
	v_add_f64_e32 v[14:15], v[10:11], v[14:15]
	;; [unrolled: 1-line block ×3, first 2 shown]
	v_fma_f64 v[52:53], v[144:145], -0.5, v[52:53]
	v_add_f64_e64 v[144:145], v[20:21], -v[24:25]
	v_add_f64_e32 v[20:21], v[2:3], v[48:49]
	v_fma_f64 v[30:31], v[142:143], -0.5, v[30:31]
	v_add_f64_e32 v[142:143], v[48:49], v[64:65]
	v_add_f64_e32 v[48:49], v[68:69], v[72:73]
	v_add_f64_e64 v[78:79], v[78:79], -v[86:87]
	v_add_f64_e32 v[164:165], v[82:83], v[42:43]
	v_fma_f64 v[62:63], v[62:63], -0.5, v[169:170]
	v_add_f64_e32 v[72:73], v[86:87], v[114:115]
	v_add_f64_e32 v[58:59], v[116:117], v[58:59]
	v_fma_f64 v[56:57], v[118:119], -0.5, v[56:57]
	v_add_f64_e32 v[76:77], v[76:77], v[84:85]
	;; [unrolled: 3-line block ×3, first 2 shown]
	v_fma_f64 v[114:115], v[102:103], s[2:3], v[98:99]
	v_fma_f64 v[100:101], v[110:111], s[2:3], v[22:23]
	v_fma_f64 v[60:61], v[154:155], -0.5, v[60:61]
	v_fma_f64 v[28:29], v[156:157], -0.5, v[28:29]
	v_add_f64_e32 v[80:81], v[80:81], v[88:89]
	v_add_f64_e32 v[50:51], v[50:51], v[66:67]
	v_fma_f64 v[68:69], v[171:172], -0.5, v[68:69]
	v_fma_f64 v[88:89], v[136:137], s[2:3], v[8:9]
	v_fma_f64 v[10:11], v[173:174], -0.5, v[10:11]
	v_fma_f64 v[116:117], v[134:135], s[2:3], v[104:105]
	v_fma_f64 v[118:119], v[136:137], s[0:1], v[8:9]
	v_add_f64_e32 v[32:33], v[32:33], v[36:37]
	v_add_f64_e32 v[66:67], v[70:71], v[74:75]
	v_fma_f64 v[104:105], v[134:135], s[0:1], v[104:105]
	v_add_f64_e32 v[86:87], v[192:193], v[138:139]
	v_add_f64_e32 v[12:13], v[12:13], v[16:17]
	v_fma_f64 v[16:17], v[140:141], -0.5, v[0:1]
	v_add_f64_e32 v[92:93], v[148:149], v[200:201]
	v_fma_f64 v[22:23], v[110:111], s[0:1], v[22:23]
	v_add_f64_e64 v[82:83], v[82:83], -v[90:91]
	v_add_f64_e32 v[34:35], v[34:35], v[38:39]
	v_fma_f64 v[42:43], v[152:153], -0.5, v[42:43]
	v_fma_f64 v[120:121], v[158:159], s[2:3], v[52:53]
	v_fma_f64 v[52:53], v[158:159], s[0:1], v[52:53]
	v_fma_f64 v[38:39], v[166:167], -0.5, v[6:7]
	v_fma_f64 v[36:37], v[160:161], s[2:3], v[30:31]
	v_fma_f64 v[30:31], v[160:161], s[0:1], v[30:31]
	v_fma_f64 v[136:137], v[142:143], -0.5, v[2:3]
	v_add_f64_e32 v[64:65], v[20:21], v[64:65]
	v_fma_f64 v[20:21], v[102:103], s[0:1], v[98:99]
	v_add_f64_e64 v[146:147], v[196:197], -v[192:193]
	v_add_f64_e32 v[90:91], v[90:91], v[164:165]
	v_add_f64_e32 v[106:107], v[106:107], v[108:109]
	v_fma_f64 v[40:41], v[179:180], -0.5, v[40:41]
	v_add_f64_e32 v[108:109], v[26:27], v[185:186]
	v_fma_f64 v[132:133], v[187:188], -0.5, v[4:5]
	v_fma_f64 v[46:47], v[128:129], -0.5, v[46:47]
	v_add_f64_e32 v[128:129], v[24:25], v[177:178]
	v_add_f64_e32 v[48:49], v[48:49], v[94:95]
	v_fma_f64 v[94:95], v[54:55], s[2:3], v[62:63]
	v_fma_f64 v[70:71], v[181:182], s[2:3], v[60:61]
	;; [unrolled: 1-line block ×10, first 2 shown]
	v_add_f64_e64 v[2:3], v[72:73], -v[58:59]
	v_fma_f64 v[148:149], v[78:79], s[0:1], v[56:57]
	v_mul_f64_e32 v[24:25], -0.5, v[100:101]
	v_mul_f64_e32 v[26:27], s[0:1], v[114:115]
	v_fma_f64 v[152:153], v[78:79], s[2:3], v[56:57]
	v_mul_f64_e32 v[54:55], -0.5, v[88:89]
	v_mul_f64_e32 v[56:57], s[0:1], v[116:117]
	v_mul_f64_e32 v[78:79], s[2:3], v[118:119]
	v_add_f64_e64 v[0:1], v[76:77], -v[84:85]
	v_add_f64_e32 v[6:7], v[72:73], v[58:59]
	v_add_f64_e32 v[4:5], v[76:77], v[84:85]
	v_fma_f64 v[72:73], v[122:123], s[2:3], v[44:45]
	v_fma_f64 v[44:45], v[122:123], s[0:1], v[44:45]
	v_mul_f64_e32 v[98:99], -0.5, v[52:53]
	v_mul_f64_e32 v[58:59], -0.5, v[36:37]
	v_mul_f64_e32 v[84:85], s[2:3], v[30:31]
	v_mul_f64_e32 v[76:77], s[0:1], v[120:121]
	v_mul_f64_e32 v[62:63], -0.5, v[104:105]
	v_add_f64_e32 v[134:135], v[14:15], v[18:19]
	v_add_f64_e64 v[10:11], v[86:87], -v[12:13]
	v_add_f64_e64 v[8:9], v[92:93], -v[96:97]
	v_add_f64_e32 v[14:15], v[86:87], v[12:13]
	v_add_f64_e32 v[12:13], v[92:93], v[96:97]
	v_fma_f64 v[86:87], v[150:151], s[2:3], v[42:43]
	v_fma_f64 v[150:151], v[150:151], s[0:1], v[42:43]
	v_mul_f64_e32 v[42:43], s[2:3], v[22:23]
	v_fma_f64 v[162:163], v[82:83], s[0:1], v[38:39]
	v_fma_f64 v[164:165], v[82:83], s[2:3], v[38:39]
	v_mul_f64_e32 v[82:83], -0.5, v[20:21]
	v_mul_f64_e32 v[110:111], s[0:1], v[70:71]
	v_mul_f64_e32 v[122:123], s[2:3], v[74:75]
	v_mul_f64_e32 v[154:155], -0.5, v[28:29]
	v_mul_f64_e32 v[156:157], -0.5, v[60:61]
	v_mul_f64_e32 v[92:93], s[0:1], v[138:139]
	v_mul_f64_e32 v[160:161], -0.5, v[68:69]
	v_mul_f64_e32 v[96:97], s[2:3], v[140:141]
	v_mul_f64_e32 v[158:159], -0.5, v[142:143]
	v_fma_f64 v[102:103], v[146:147], s[0:1], v[16:17]
	v_fma_f64 v[146:147], v[146:147], s[2:3], v[16:17]
	v_add_f64_e64 v[18:19], v[90:91], -v[34:35]
	v_add_f64_e64 v[16:17], v[80:81], -v[106:107]
	v_fma_f64 v[166:167], v[20:21], s[0:1], v[24:25]
	v_fma_f64 v[168:169], v[22:23], 0.5, v[26:27]
	v_add_f64_e32 v[22:23], v[90:91], v[34:35]
	v_fma_f64 v[90:91], v[104:105], s[0:1], v[54:55]
	v_fma_f64 v[104:105], v[118:119], 0.5, v[56:57]
	v_fma_f64 v[78:79], v[116:117], 0.5, v[78:79]
	v_add_f64_e32 v[20:21], v[80:81], v[106:107]
	v_fma_f64 v[106:107], v[175:176], s[2:3], v[40:41]
	v_fma_f64 v[40:41], v[175:176], s[0:1], v[40:41]
	;; [unrolled: 1-line block ×5, first 2 shown]
	v_fma_f64 v[84:85], v[120:121], 0.5, v[84:85]
	v_fma_f64 v[120:121], v[36:37], s[2:3], v[98:99]
	v_fma_f64 v[76:77], v[30:31], 0.5, v[76:77]
	v_fma_f64 v[88:89], v[88:89], s[2:3], v[62:63]
	v_add_f64_e64 v[26:27], v[108:109], -v[32:33]
	v_add_f64_e32 v[30:31], v[108:109], v[32:33]
	v_fma_f64 v[108:109], v[112:113], s[0:1], v[46:47]
	v_add_f64_e64 v[34:35], v[128:129], -v[134:135]
	v_add_f64_e32 v[38:39], v[128:129], v[134:135]
	v_add_f64_e64 v[24:25], v[50:51], -v[66:67]
	v_fma_f64 v[128:129], v[114:115], 0.5, v[42:43]
	v_add_f64_e32 v[36:37], v[64:65], v[48:49]
	v_add_f64_e64 v[32:33], v[64:65], -v[48:49]
	v_fma_f64 v[134:135], v[100:101], s[2:3], v[82:83]
	v_fma_f64 v[98:99], v[74:75], 0.5, v[110:111]
	v_fma_f64 v[110:111], v[70:71], 0.5, v[122:123]
	v_fma_f64 v[122:123], v[60:61], s[0:1], v[154:155]
	v_fma_f64 v[132:133], v[28:29], s[2:3], v[156:157]
	;; [unrolled: 1-line block ×5, first 2 shown]
	v_fma_f64 v[140:141], v[140:141], 0.5, v[92:93]
	v_fma_f64 v[138:139], v[138:139], 0.5, v[96:97]
	v_fma_f64 v[144:145], v[68:69], s[0:1], v[158:159]
	v_fma_f64 v[142:143], v[142:143], s[2:3], v[160:161]
	v_add_f64_e32 v[28:29], v[50:51], v[66:67]
	v_add_f64_e64 v[42:43], v[94:95], -v[166:167]
	v_add_f64_e32 v[50:51], v[94:95], v[166:167]
	v_add_f64_e64 v[46:47], v[130:131], -v[168:169]
	v_add_f64_e64 v[54:55], v[72:73], -v[90:91]
	v_add_f64_e32 v[62:63], v[72:73], v[90:91]
	v_add_f64_e64 v[56:57], v[146:147], -v[78:79]
	v_add_f64_e32 v[64:65], v[146:147], v[78:79]
	v_add_f64_e32 v[66:67], v[44:45], v[104:105]
	v_add_f64_e64 v[58:59], v[44:45], -v[104:105]
	v_add_f64_e64 v[70:71], v[86:87], -v[80:81]
	;; [unrolled: 1-line block ×3, first 2 shown]
	v_add_f64_e32 v[78:79], v[86:87], v[80:81]
	v_add_f64_e32 v[80:81], v[164:165], v[84:85]
	;; [unrolled: 1-line block ×3, first 2 shown]
	v_add_f64_e64 v[52:53], v[102:103], -v[88:89]
	v_add_f64_e32 v[60:61], v[102:103], v[88:89]
	v_add_f64_e64 v[74:75], v[150:151], -v[76:77]
	v_add_f64_e32 v[76:77], v[162:163], v[120:121]
	v_add_f64_e64 v[68:69], v[162:163], -v[120:121]
	v_add_co_u32 v120, vcc_lo, v214, v124
	v_add_f64_e64 v[44:45], v[152:153], -v[128:129]
	s_wait_alu 0xfffd
	v_add_co_ci_u32_e32 v121, vcc_lo, v215, v125, vcc_lo
	v_add_f64_e32 v[86:87], v[40:41], v[98:99]
	v_add_f64_e32 v[84:85], v[118:119], v[110:111]
	;; [unrolled: 1-line block ×4, first 2 shown]
	v_add_f64_e64 v[94:95], v[40:41], -v[98:99]
	v_add_f64_e64 v[92:93], v[118:119], -v[110:111]
	;; [unrolled: 1-line block ×4, first 2 shown]
	v_add_f64_e32 v[102:103], v[108:109], v[140:141]
	v_add_f64_e32 v[100:101], v[136:137], v[138:139]
	;; [unrolled: 1-line block ×4, first 2 shown]
	v_add_f64_e64 v[110:111], v[108:109], -v[140:141]
	v_add_f64_e64 v[108:109], v[136:137], -v[138:139]
	;; [unrolled: 1-line block ×4, first 2 shown]
	v_add_f64_e32 v[118:119], v[130:131], v[168:169]
	v_add_f64_e32 v[116:117], v[152:153], v[128:129]
	;; [unrolled: 1-line block ×3, first 2 shown]
	v_add_f64_e64 v[40:41], v[148:149], -v[134:135]
	v_add_co_u32 v122, vcc_lo, v120, v126
	s_wait_alu 0xfffd
	v_add_co_ci_u32_e32 v123, vcc_lo, v121, v127, vcc_lo
	s_clause 0x1d
	global_store_b128 v[120:121], v[28:31], off offset:3840
	global_store_b128 v[120:121], v[20:23], off offset:5760
	;; [unrolled: 1-line block ×4, first 2 shown]
	global_store_b128 v[120:121], v[12:15], off
	global_store_b128 v[120:121], v[36:39], off offset:1920
	global_store_b128 v[120:121], v[8:11], off offset:28800
	;; [unrolled: 1-line block ×25, first 2 shown]
.LBB0_13:
	s_nop 0
	s_sendmsg sendmsg(MSG_DEALLOC_VGPRS)
	s_endpgm
	.section	.rodata,"a",@progbits
	.p2align	6, 0x0
	.amdhsa_kernel fft_rtc_fwd_len3600_factors_10_10_6_6_wgs_120_tpt_120_halfLds_dp_ip_CI_unitstride_sbrr_dirReg
		.amdhsa_group_segment_fixed_size 0
		.amdhsa_private_segment_fixed_size 0
		.amdhsa_kernarg_size 88
		.amdhsa_user_sgpr_count 2
		.amdhsa_user_sgpr_dispatch_ptr 0
		.amdhsa_user_sgpr_queue_ptr 0
		.amdhsa_user_sgpr_kernarg_segment_ptr 1
		.amdhsa_user_sgpr_dispatch_id 0
		.amdhsa_user_sgpr_private_segment_size 0
		.amdhsa_wavefront_size32 1
		.amdhsa_uses_dynamic_stack 0
		.amdhsa_enable_private_segment 0
		.amdhsa_system_sgpr_workgroup_id_x 1
		.amdhsa_system_sgpr_workgroup_id_y 0
		.amdhsa_system_sgpr_workgroup_id_z 0
		.amdhsa_system_sgpr_workgroup_info 0
		.amdhsa_system_vgpr_workitem_id 0
		.amdhsa_next_free_vgpr 232
		.amdhsa_next_free_sgpr 32
		.amdhsa_reserve_vcc 1
		.amdhsa_float_round_mode_32 0
		.amdhsa_float_round_mode_16_64 0
		.amdhsa_float_denorm_mode_32 3
		.amdhsa_float_denorm_mode_16_64 3
		.amdhsa_fp16_overflow 0
		.amdhsa_workgroup_processor_mode 1
		.amdhsa_memory_ordered 1
		.amdhsa_forward_progress 0
		.amdhsa_round_robin_scheduling 0
		.amdhsa_exception_fp_ieee_invalid_op 0
		.amdhsa_exception_fp_denorm_src 0
		.amdhsa_exception_fp_ieee_div_zero 0
		.amdhsa_exception_fp_ieee_overflow 0
		.amdhsa_exception_fp_ieee_underflow 0
		.amdhsa_exception_fp_ieee_inexact 0
		.amdhsa_exception_int_div_zero 0
	.end_amdhsa_kernel
	.text
.Lfunc_end0:
	.size	fft_rtc_fwd_len3600_factors_10_10_6_6_wgs_120_tpt_120_halfLds_dp_ip_CI_unitstride_sbrr_dirReg, .Lfunc_end0-fft_rtc_fwd_len3600_factors_10_10_6_6_wgs_120_tpt_120_halfLds_dp_ip_CI_unitstride_sbrr_dirReg
                                        ; -- End function
	.section	.AMDGPU.csdata,"",@progbits
; Kernel info:
; codeLenInByte = 17392
; NumSgprs: 34
; NumVgprs: 232
; ScratchSize: 0
; MemoryBound: 1
; FloatMode: 240
; IeeeMode: 1
; LDSByteSize: 0 bytes/workgroup (compile time only)
; SGPRBlocks: 4
; VGPRBlocks: 28
; NumSGPRsForWavesPerEU: 34
; NumVGPRsForWavesPerEU: 232
; Occupancy: 6
; WaveLimiterHint : 1
; COMPUTE_PGM_RSRC2:SCRATCH_EN: 0
; COMPUTE_PGM_RSRC2:USER_SGPR: 2
; COMPUTE_PGM_RSRC2:TRAP_HANDLER: 0
; COMPUTE_PGM_RSRC2:TGID_X_EN: 1
; COMPUTE_PGM_RSRC2:TGID_Y_EN: 0
; COMPUTE_PGM_RSRC2:TGID_Z_EN: 0
; COMPUTE_PGM_RSRC2:TIDIG_COMP_CNT: 0
	.text
	.p2alignl 7, 3214868480
	.fill 96, 4, 3214868480
	.type	__hip_cuid_e97edd865f14a65d,@object ; @__hip_cuid_e97edd865f14a65d
	.section	.bss,"aw",@nobits
	.globl	__hip_cuid_e97edd865f14a65d
__hip_cuid_e97edd865f14a65d:
	.byte	0                               ; 0x0
	.size	__hip_cuid_e97edd865f14a65d, 1

	.ident	"AMD clang version 19.0.0git (https://github.com/RadeonOpenCompute/llvm-project roc-6.4.0 25133 c7fe45cf4b819c5991fe208aaa96edf142730f1d)"
	.section	".note.GNU-stack","",@progbits
	.addrsig
	.addrsig_sym __hip_cuid_e97edd865f14a65d
	.amdgpu_metadata
---
amdhsa.kernels:
  - .args:
      - .actual_access:  read_only
        .address_space:  global
        .offset:         0
        .size:           8
        .value_kind:     global_buffer
      - .offset:         8
        .size:           8
        .value_kind:     by_value
      - .actual_access:  read_only
        .address_space:  global
        .offset:         16
        .size:           8
        .value_kind:     global_buffer
      - .actual_access:  read_only
        .address_space:  global
        .offset:         24
        .size:           8
        .value_kind:     global_buffer
      - .offset:         32
        .size:           8
        .value_kind:     by_value
      - .actual_access:  read_only
        .address_space:  global
        .offset:         40
        .size:           8
        .value_kind:     global_buffer
      - .actual_access:  read_only
        .address_space:  global
        .offset:         48
        .size:           8
        .value_kind:     global_buffer
      - .offset:         56
        .size:           4
        .value_kind:     by_value
      - .actual_access:  read_only
        .address_space:  global
        .offset:         64
        .size:           8
        .value_kind:     global_buffer
      - .actual_access:  read_only
        .address_space:  global
        .offset:         72
        .size:           8
        .value_kind:     global_buffer
      - .address_space:  global
        .offset:         80
        .size:           8
        .value_kind:     global_buffer
    .group_segment_fixed_size: 0
    .kernarg_segment_align: 8
    .kernarg_segment_size: 88
    .language:       OpenCL C
    .language_version:
      - 2
      - 0
    .max_flat_workgroup_size: 120
    .name:           fft_rtc_fwd_len3600_factors_10_10_6_6_wgs_120_tpt_120_halfLds_dp_ip_CI_unitstride_sbrr_dirReg
    .private_segment_fixed_size: 0
    .sgpr_count:     34
    .sgpr_spill_count: 0
    .symbol:         fft_rtc_fwd_len3600_factors_10_10_6_6_wgs_120_tpt_120_halfLds_dp_ip_CI_unitstride_sbrr_dirReg.kd
    .uniform_work_group_size: 1
    .uses_dynamic_stack: false
    .vgpr_count:     232
    .vgpr_spill_count: 0
    .wavefront_size: 32
    .workgroup_processor_mode: 1
amdhsa.target:   amdgcn-amd-amdhsa--gfx1201
amdhsa.version:
  - 1
  - 2
...

	.end_amdgpu_metadata
